;; amdgpu-corpus repo=ROCm/rocFFT kind=compiled arch=gfx1201 opt=O3
	.text
	.amdgcn_target "amdgcn-amd-amdhsa--gfx1201"
	.amdhsa_code_object_version 6
	.protected	bluestein_single_fwd_len990_dim1_sp_op_CI_CI ; -- Begin function bluestein_single_fwd_len990_dim1_sp_op_CI_CI
	.globl	bluestein_single_fwd_len990_dim1_sp_op_CI_CI
	.p2align	8
	.type	bluestein_single_fwd_len990_dim1_sp_op_CI_CI,@function
bluestein_single_fwd_len990_dim1_sp_op_CI_CI: ; @bluestein_single_fwd_len990_dim1_sp_op_CI_CI
; %bb.0:
	s_load_b128 s[8:11], s[0:1], 0x28
	v_mul_u32_u24_e32 v1, 0x254, v0
	s_mov_b32 s2, exec_lo
	v_mov_b32_e32 v73, 0
	s_delay_alu instid0(VALU_DEP_2) | instskip(NEXT) | instid1(VALU_DEP_1)
	v_lshrrev_b32_e32 v1, 16, v1
	v_add_nc_u32_e32 v72, ttmp9, v1
	s_wait_kmcnt 0x0
	s_delay_alu instid0(VALU_DEP_1)
	v_cmpx_gt_u64_e64 s[8:9], v[72:73]
	s_cbranch_execz .LBB0_31
; %bb.1:
	s_clause 0x1
	s_load_b128 s[4:7], s[0:1], 0x18
	s_load_b64 s[16:17], s[0:1], 0x0
	v_mul_lo_u16 v1, 0x6e, v1
	s_movk_i32 s2, 0xfe7f
	s_mov_b32 s3, -1
	s_delay_alu instid0(VALU_DEP_1) | instskip(NEXT) | instid1(VALU_DEP_1)
	v_sub_nc_u16 v24, v0, v1
	v_and_b32_e32 v94, 0xffff, v24
	s_wait_kmcnt 0x0
	s_load_b128 s[12:15], s[4:5], 0x0
	s_wait_kmcnt 0x0
	v_mad_co_u64_u32 v[0:1], null, s14, v72, 0
	v_mad_co_u64_u32 v[2:3], null, s12, v94, 0
	s_mul_u64 s[4:5], s[12:13], 0x1ef
	s_mul_u64 s[2:3], s[12:13], s[2:3]
	s_delay_alu instid0(SALU_CYCLE_1) | instskip(NEXT) | instid1(VALU_DEP_1)
	s_lshl_b64 s[2:3], s[2:3], 3
	v_mad_co_u64_u32 v[4:5], null, s15, v72, v[1:2]
	s_delay_alu instid0(VALU_DEP_1) | instskip(NEXT) | instid1(VALU_DEP_3)
	v_mov_b32_e32 v1, v4
	v_mad_co_u64_u32 v[5:6], null, s13, v94, v[3:4]
	v_lshlrev_b32_e32 v93, 3, v94
	s_clause 0x2
	global_load_b64 v[77:78], v93, s[16:17]
	global_load_b64 v[79:80], v93, s[16:17] offset:880
	global_load_b64 v[81:82], v93, s[16:17] offset:1760
	v_mov_b32_e32 v3, v5
	v_lshlrev_b64_e32 v[0:1], 3, v[0:1]
	s_delay_alu instid0(VALU_DEP_2) | instskip(NEXT) | instid1(VALU_DEP_2)
	v_lshlrev_b64_e32 v[2:3], 3, v[2:3]
	v_add_co_u32 v0, vcc_lo, s10, v0
	s_delay_alu instid0(VALU_DEP_3) | instskip(SKIP_1) | instid1(VALU_DEP_2)
	v_add_co_ci_u32_e32 v1, vcc_lo, s11, v1, vcc_lo
	s_lshl_b64 s[10:11], s[4:5], 3
	v_add_co_u32 v0, vcc_lo, v0, v2
	s_wait_alu 0xfffd
	s_delay_alu instid0(VALU_DEP_2) | instskip(SKIP_1) | instid1(VALU_DEP_2)
	v_add_co_ci_u32_e32 v1, vcc_lo, v1, v3, vcc_lo
	s_wait_alu 0xfffe
	v_add_co_u32 v2, vcc_lo, v0, s10
	s_wait_alu 0xfffd
	s_delay_alu instid0(VALU_DEP_2)
	v_add_co_ci_u32_e32 v3, vcc_lo, s11, v1, vcc_lo
	s_clause 0x1
	global_load_b64 v[6:7], v[0:1], off
	global_load_b64 v[8:9], v[2:3], off
	s_clause 0x2
	global_load_b64 v[89:90], v93, s[16:17] offset:3960
	global_load_b64 v[87:88], v93, s[16:17] offset:4840
	;; [unrolled: 1-line block ×3, first 2 shown]
	v_add_co_u32 v4, vcc_lo, v2, s2
	s_wait_alu 0xfffd
	v_add_co_ci_u32_e32 v5, vcc_lo, s3, v3, vcc_lo
	s_delay_alu instid0(VALU_DEP_2) | instskip(SKIP_1) | instid1(VALU_DEP_2)
	v_add_co_u32 v0, vcc_lo, v4, s10
	s_wait_alu 0xfffd
	v_add_co_ci_u32_e32 v1, vcc_lo, s11, v5, vcc_lo
	s_clause 0x1
	global_load_b64 v[4:5], v[4:5], off
	global_load_b64 v[10:11], v[0:1], off
	v_add_co_u32 v2, vcc_lo, v0, s2
	s_wait_alu 0xfffd
	v_add_co_ci_u32_e32 v3, vcc_lo, s3, v1, vcc_lo
	s_delay_alu instid0(VALU_DEP_2) | instskip(SKIP_1) | instid1(VALU_DEP_2)
	v_add_co_u32 v0, vcc_lo, v2, s10
	s_wait_alu 0xfffd
	v_add_co_ci_u32_e32 v1, vcc_lo, s11, v3, vcc_lo
	global_load_b64 v[12:13], v[2:3], off
	v_add_co_u32 v2, vcc_lo, v0, s2
	s_wait_alu 0xfffd
	v_add_co_ci_u32_e32 v3, vcc_lo, s3, v1, vcc_lo
	global_load_b64 v[14:15], v[0:1], off
	v_add_co_u32 v0, vcc_lo, v2, s10
	s_wait_alu 0xfffd
	v_add_co_ci_u32_e32 v1, vcc_lo, s11, v3, vcc_lo
	v_cmp_gt_u16_e32 vcc_lo, 55, v24
	s_wait_loadcnt 0x8
	v_mul_f32_e32 v23, v6, v78
	s_wait_loadcnt 0x6
	v_mul_f32_e32 v20, v9, v90
	v_mul_f32_e32 v22, v7, v78
	s_delay_alu instid0(VALU_DEP_2)
	v_fmac_f32_e32 v20, v8, v89
	global_load_b64 v[83:84], v93, s[16:17] offset:2640
	global_load_b64 v[16:17], v[2:3], off
	global_load_b64 v[85:86], v93, s[16:17] offset:6600
	global_load_b64 v[18:19], v[0:1], off
	v_add_nc_u32_e32 v25, 0x1000, v93
	v_dual_mul_f32 v3, v8, v90 :: v_dual_fmac_f32 v22, v6, v77
	s_load_b64 s[8:9], s[0:1], 0x38
	s_load_b128 s[4:7], s[6:7], 0x0
	v_add_co_u32 v73, s12, s16, v93
	s_delay_alu instid0(VALU_DEP_2)
	v_fma_f32 v21, v9, v89, -v3
	s_wait_loadcnt 0x7
	v_mul_f32_e32 v8, v4, v80
	s_wait_loadcnt 0x6
	v_mul_f32_e32 v6, v11, v88
	v_fma_f32 v23, v7, v77, -v23
	s_wait_alu 0xf1ff
	v_add_co_ci_u32_e64 v74, null, s17, 0, s12
	ds_store_b64 v93, v[20:21] offset:3960
	s_wait_loadcnt 0x5
	v_dual_mul_f32 v9, v12, v82 :: v_dual_add_nc_u32 v2, 0x400, v93
	v_dual_mul_f32 v3, v5, v80 :: v_dual_fmac_f32 v6, v10, v87
	s_delay_alu instid0(VALU_DEP_2) | instskip(NEXT) | instid1(VALU_DEP_2)
	v_fma_f32 v9, v13, v81, -v9
	v_fmac_f32_e32 v3, v4, v79
	v_fma_f32 v4, v5, v79, -v8
	v_dual_mul_f32 v5, v10, v88 :: v_dual_mul_f32 v8, v13, v82
	s_wait_loadcnt 0x4
	v_mul_f32_e32 v10, v15, v76
	s_delay_alu instid0(VALU_DEP_2) | instskip(NEXT) | instid1(VALU_DEP_3)
	v_fma_f32 v7, v11, v87, -v5
	v_dual_fmac_f32 v8, v12, v81 :: v_dual_mul_f32 v5, v14, v76
	s_delay_alu instid0(VALU_DEP_3) | instskip(NEXT) | instid1(VALU_DEP_2)
	v_fmac_f32_e32 v10, v14, v75
	v_fma_f32 v11, v15, v75, -v5
	s_wait_loadcnt 0x2
	v_mul_f32_e32 v13, v16, v84
	v_mul_f32_e32 v12, v17, v84
	s_wait_loadcnt 0x0
	v_mul_f32_e32 v14, v19, v86
	v_mul_f32_e32 v20, v18, v86
	v_fma_f32 v13, v17, v83, -v13
	v_fmac_f32_e32 v12, v16, v83
	s_delay_alu instid0(VALU_DEP_4) | instskip(NEXT) | instid1(VALU_DEP_4)
	v_fmac_f32_e32 v14, v18, v85
	v_fma_f32 v15, v19, v85, -v20
	ds_store_2addr_b64 v93, v[22:23], v[3:4] offset1:110
	ds_store_2addr_b64 v25, v[6:7], v[10:11] offset0:93 offset1:203
	ds_store_2addr_b64 v2, v[8:9], v[12:13] offset0:92 offset1:202
	ds_store_b64 v93, v[14:15] offset:6600
	s_and_saveexec_b32 s12, vcc_lo
	s_cbranch_execz .LBB0_3
; %bb.2:
	v_add_co_u32 v0, s2, v0, s2
	s_wait_alu 0xf1ff
	v_add_co_ci_u32_e64 v1, s2, s3, v1, s2
	s_delay_alu instid0(VALU_DEP_2) | instskip(SKIP_1) | instid1(VALU_DEP_2)
	v_add_co_u32 v3, s2, v0, s10
	s_wait_alu 0xf1ff
	v_add_co_ci_u32_e64 v4, s2, s11, v1, s2
	global_load_b64 v[0:1], v[0:1], off
	s_clause 0x1
	global_load_b64 v[5:6], v[73:74], off offset:3520
	global_load_b64 v[7:8], v[73:74], off offset:7480
	global_load_b64 v[3:4], v[3:4], off
	s_wait_loadcnt 0x2
	v_mul_f32_e32 v9, v1, v6
	v_mul_f32_e32 v10, v0, v6
	s_wait_loadcnt 0x0
	v_mul_f32_e32 v6, v4, v8
	s_delay_alu instid0(VALU_DEP_3) | instskip(NEXT) | instid1(VALU_DEP_3)
	v_dual_mul_f32 v8, v3, v8 :: v_dual_fmac_f32 v9, v0, v5
	v_fma_f32 v10, v1, v5, -v10
	s_delay_alu instid0(VALU_DEP_3) | instskip(NEXT) | instid1(VALU_DEP_3)
	v_fmac_f32_e32 v6, v3, v7
	v_fma_f32 v7, v4, v7, -v8
	ds_store_b64 v93, v[9:10] offset:3520
	ds_store_b64 v93, v[6:7] offset:7480
.LBB0_3:
	s_wait_alu 0xfffe
	s_or_b32 exec_lo, exec_lo, s12
	v_add_nc_u32_e32 v0, 0xc00, v93
	v_add_nc_u32_e32 v4, 0x1400, v93
	global_wb scope:SCOPE_SE
	s_wait_dscnt 0x0
	s_wait_kmcnt 0x0
	s_barrier_signal -1
	s_barrier_wait -1
	global_inv scope:SCOPE_SE
	ds_load_2addr_b64 v[8:11], v93 offset1:110
	ds_load_2addr_b64 v[12:15], v0 offset0:111 offset1:221
	ds_load_2addr_b64 v[0:3], v2 offset0:92 offset1:202
	;; [unrolled: 1-line block ×3, first 2 shown]
	s_load_b64 s[2:3], s[0:1], 0x8
                                        ; implicit-def: $vgpr18
                                        ; implicit-def: $vgpr16
	s_and_saveexec_b32 s0, vcc_lo
	s_cbranch_execz .LBB0_5
; %bb.4:
	ds_load_b64 v[16:17], v93 offset:3520
	ds_load_b64 v[18:19], v93 offset:7480
.LBB0_5:
	s_wait_alu 0xfffe
	s_or_b32 exec_lo, exec_lo, s0
	s_wait_dscnt 0x2
	v_dual_sub_f32 v29, v8, v12 :: v_dual_sub_f32 v12, v10, v14
	v_dual_sub_f32 v30, v9, v13 :: v_dual_lshlrev_b32 v101, 4, v94
	v_sub_f32_e32 v13, v11, v15
	s_delay_alu instid0(VALU_DEP_3)
	v_fma_f32 v27, v8, 2.0, -v29
	s_wait_dscnt 0x0
	v_sub_f32_e32 v8, v0, v4
	v_sub_f32_e32 v4, v2, v6
	v_fma_f32 v28, v9, 2.0, -v30
	v_sub_f32_e32 v9, v1, v5
	v_add_co_u32 v26, null, 0x6e, v94
	v_fma_f32 v6, v0, 2.0, -v8
	v_lshlrev_b16 v0, 1, v94
	v_add_co_u32 v22, s0, 0xdc, v94
	v_add_co_u32 v14, null, 0x1b8, v94
	s_delay_alu instid0(VALU_DEP_3)
	v_dual_sub_f32 v21, v17, v19 :: v_dual_and_b32 v0, 0xffff, v0
	v_sub_f32_e32 v5, v3, v7
	s_wait_alu 0xf1ff
	v_add_co_ci_u32_e64 v20, null, 0, 0, s0
	v_sub_f32_e32 v20, v16, v18
	v_lshlrev_b32_e32 v98, 3, v0
	v_lshlrev_b32_e32 v99, 4, v26
	;; [unrolled: 1-line block ×4, first 2 shown]
	v_fma_f32 v10, v10, 2.0, -v12
	v_fma_f32 v11, v11, 2.0, -v13
	v_fma_f32 v7, v1, 2.0, -v9
	v_fma_f32 v2, v2, 2.0, -v4
	v_fma_f32 v3, v3, 2.0, -v5
	global_wb scope:SCOPE_SE
	s_wait_kmcnt 0x0
	s_barrier_signal -1
	s_barrier_wait -1
	global_inv scope:SCOPE_SE
	ds_store_b128 v98, v[27:30]
	ds_store_b128 v99, v[10:13]
	;; [unrolled: 1-line block ×3, first 2 shown]
	ds_store_b128 v101, v[2:5] offset:5280
	s_and_saveexec_b32 s0, vcc_lo
	s_cbranch_execz .LBB0_7
; %bb.6:
	v_fma_f32 v19, v17, 2.0, -v21
	v_fma_f32 v18, v16, 2.0, -v20
	ds_store_b128 v97, v[18:21]
.LBB0_7:
	s_wait_alu 0xfffe
	s_or_b32 exec_lo, exec_lo, s0
	v_and_b32_e32 v23, 1, v94
	global_wb scope:SCOPE_SE
	s_wait_dscnt 0x0
	s_barrier_signal -1
	s_barrier_wait -1
	global_inv scope:SCOPE_SE
	v_lshlrev_b32_e32 v0, 4, v23
	ds_load_2addr_b64 v[4:7], v93 offset1:110
	ds_load_b64 v[18:19], v93 offset:7040
	v_lshrrev_b32_e32 v33, 1, v22
	v_lshrrev_b32_e32 v24, 1, v94
	global_load_b128 v[0:3], v0, s[2:3]
	v_add_nc_u32_e32 v31, 0x400, v93
	v_add_nc_u32_e32 v32, 0x1400, v93
	;; [unrolled: 1-line block ×3, first 2 shown]
	v_lshrrev_b32_e32 v25, 1, v26
	ds_load_2addr_b64 v[8:11], v31 offset0:92 offset1:202
	ds_load_2addr_b64 v[12:15], v32 offset0:20 offset1:130
	;; [unrolled: 1-line block ×3, first 2 shown]
	v_and_b32_e32 v34, 0xffff, v22
	v_and_b32_e32 v17, 0xff, v94
	;; [unrolled: 1-line block ×3, first 2 shown]
	v_mul_u32_u24_e32 v33, 6, v33
	v_mul_u32_u24_e32 v24, 6, v24
	;; [unrolled: 1-line block ×3, first 2 shown]
	global_wb scope:SCOPE_SE
	s_wait_loadcnt_dscnt 0x0
	s_barrier_signal -1
	s_barrier_wait -1
	global_inv scope:SCOPE_SE
	v_mul_f32_e32 v43, v28, v1
	v_mul_f32_e32 v45, v15, v3
	v_mul_u32_u24_e32 v34, 0xaaab, v34
	v_mul_lo_u16 v37, 0xab, v16
	v_mul_f32_e32 v44, v27, v1
	v_mul_lo_u16 v36, 0xab, v17
	v_mul_f32_e32 v46, v14, v3
	v_lshrrev_b32_e32 v34, 18, v34
	v_lshrrev_b16 v37, 10, v37
	v_mul_f32_e32 v48, v29, v1
	v_lshrrev_b16 v36, 10, v36
	v_mul_f32_e32 v49, v19, v3
	v_mul_lo_u16 v40, v34, 6
	v_mul_lo_u16 v39, v37, 6
	v_mul_f32_e32 v47, v30, v1
	v_mul_lo_u16 v38, v36, 6
	v_mul_f32_e32 v50, v18, v3
	v_sub_nc_u16 v40, v22, v40
	v_or_b32_e32 v22, v33, v23
	v_sub_nc_u16 v39, v26, v39
	v_sub_nc_u16 v38, v94, v38
	v_fmac_f32_e32 v44, v28, v0
	v_fmac_f32_e32 v46, v15, v2
	v_lshlrev_b32_e32 v102, 3, v22
	v_mul_f32_e32 v22, v11, v1
	v_or_b32_e32 v24, v24, v23
	v_or_b32_e32 v25, v25, v23
	v_lshlrev_b16 v23, 4, v40
	v_and_b32_e32 v38, 0xff, v38
	v_and_b32_e32 v39, 0xff, v39
	v_lshlrev_b32_e32 v104, 3, v24
	v_dual_mul_f32 v24, v13, v3 :: v_dual_lshlrev_b32 v103, 3, v25
	v_mul_f32_e32 v25, v12, v3
	v_dual_mul_f32 v23, v10, v1 :: v_dual_and_b32 v42, 0xffff, v23
	v_fma_f32 v10, v10, v0, -v22
	v_lshlrev_b32_e32 v33, 4, v38
	s_delay_alu instid0(VALU_DEP_4)
	v_fmac_f32_e32 v25, v13, v2
	v_lshlrev_b32_e32 v41, 4, v39
	v_fmac_f32_e32 v23, v11, v0
	v_fma_f32 v11, v12, v2, -v24
	v_fma_f32 v12, v27, v0, -v43
	;; [unrolled: 1-line block ×4, first 2 shown]
	v_fmac_f32_e32 v48, v30, v0
	v_fma_f32 v15, v18, v2, -v49
	v_dual_fmac_f32 v50, v19, v2 :: v_dual_add_f32 v19, v10, v11
	s_delay_alu instid0(VALU_DEP_4)
	v_dual_sub_f32 v22, v23, v25 :: v_dual_add_f32 v47, v8, v14
	v_dual_add_f32 v24, v5, v23 :: v_dual_add_f32 v29, v12, v13
	v_dual_add_f32 v23, v23, v25 :: v_dual_sub_f32 v30, v44, v46
	v_dual_add_f32 v43, v7, v44 :: v_dual_add_f32 v44, v44, v46
	v_add_f32_e32 v49, v14, v15
	v_dual_sub_f32 v51, v48, v50 :: v_dual_add_f32 v52, v9, v48
	v_dual_add_f32 v48, v48, v50 :: v_dual_sub_f32 v53, v14, v15
	v_dual_add_f32 v18, v4, v10 :: v_dual_sub_f32 v27, v10, v11
	v_fma_f32 v4, -0.5, v19, v4
	v_fma_f32 v5, -0.5, v23, v5
	v_dual_add_f32 v28, v6, v12 :: v_dual_sub_f32 v45, v12, v13
	v_fma_f32 v6, -0.5, v29, v6
	v_dual_fmac_f32 v7, -0.5, v44 :: v_dual_add_f32 v14, v47, v15
	v_fma_f32 v8, -0.5, v49, v8
	v_dual_fmac_f32 v9, -0.5, v48 :: v_dual_add_f32 v10, v18, v11
	v_add_f32_e32 v11, v24, v25
	v_dual_add_f32 v15, v52, v50 :: v_dual_fmamk_f32 v18, v22, 0x3f5db3d7, v4
	v_dual_fmamk_f32 v19, v27, 0xbf5db3d7, v5 :: v_dual_fmac_f32 v4, 0xbf5db3d7, v22
	v_dual_fmac_f32 v5, 0x3f5db3d7, v27 :: v_dual_fmamk_f32 v22, v30, 0x3f5db3d7, v6
	v_dual_add_f32 v12, v28, v13 :: v_dual_add_f32 v13, v43, v46
	v_dual_fmamk_f32 v23, v45, 0xbf5db3d7, v7 :: v_dual_fmac_f32 v6, 0xbf5db3d7, v30
	v_dual_fmac_f32 v7, 0x3f5db3d7, v45 :: v_dual_fmamk_f32 v24, v51, 0x3f5db3d7, v8
	v_dual_fmamk_f32 v25, v53, 0xbf5db3d7, v9 :: v_dual_fmac_f32 v8, 0xbf5db3d7, v51
	v_fmac_f32_e32 v9, 0x3f5db3d7, v53
	ds_store_2addr_b64 v104, v[10:11], v[18:19] offset1:2
	ds_store_b64 v104, v[4:5] offset:32
	ds_store_2addr_b64 v103, v[12:13], v[22:23] offset1:2
	ds_store_b64 v103, v[6:7] offset:32
	;; [unrolled: 2-line block ×3, first 2 shown]
	v_add_co_u32 v4, s0, s2, v42
	s_wait_alu 0xf1ff
	v_add_co_ci_u32_e64 v5, null, s3, 0, s0
	global_wb scope:SCOPE_SE
	s_wait_dscnt 0x0
	s_barrier_signal -1
	s_barrier_wait -1
	global_inv scope:SCOPE_SE
	s_clause 0x2
	global_load_b128 v[12:15], v33, s[2:3] offset:32
	global_load_b128 v[8:11], v41, s[2:3] offset:32
	global_load_b128 v[4:7], v[4:5], off offset:32
	ds_load_2addr_b64 v[22:25], v31 offset0:92 offset1:202
	v_and_b32_e32 v18, 0xffff, v36
	ds_load_2addr_b64 v[27:30], v32 offset0:20 offset1:130
	v_mad_u16 v36, v34, 18, v40
	ds_load_2addr_b64 v[31:34], v35 offset0:56 offset1:166
	ds_load_2addr_b64 v[54:57], v93 offset1:110
	v_and_b32_e32 v19, 0xffff, v37
	v_mul_u32_u24_e32 v37, 18, v18
	v_and_b32_e32 v36, 0xffff, v36
	v_cmp_gt_u16_e64 s0, 0x58, v94
	s_delay_alu instid0(VALU_DEP_4)
	v_mul_u32_u24_e32 v40, 18, v19
	ds_load_b64 v[18:19], v93 offset:7040
	v_add_lshl_u32 v108, v37, v38, 3
	global_wb scope:SCOPE_SE
	s_wait_loadcnt_dscnt 0x0
	s_barrier_signal -1
	v_add_lshl_u32 v106, v40, v39, 3
	s_barrier_wait -1
	global_inv scope:SCOPE_SE
	v_mul_f32_e32 v39, v27, v15
	v_dual_mul_f32 v36, v25, v13 :: v_dual_lshlrev_b32 v105, 3, v36
	v_mul_f32_e32 v37, v24, v13
	v_mul_f32_e32 v38, v28, v15
	v_dual_mul_f32 v40, v32, v9 :: v_dual_mul_f32 v43, v29, v11
	v_mul_f32_e32 v42, v30, v11
	s_delay_alu instid0(VALU_DEP_4)
	v_dual_mul_f32 v44, v34, v5 :: v_dual_fmac_f32 v37, v25, v12
	v_dual_mul_f32 v45, v33, v5 :: v_dual_mul_f32 v46, v19, v7
	v_fma_f32 v24, v24, v12, -v36
	v_fma_f32 v25, v27, v14, -v38
	;; [unrolled: 1-line block ×3, first 2 shown]
	v_mul_f32_e32 v41, v31, v9
	v_mul_f32_e32 v47, v18, v7
	v_fmac_f32_e32 v43, v30, v10
	v_fma_f32 v30, v18, v6, -v46
	v_add_f32_e32 v36, v56, v27
	v_fmac_f32_e32 v41, v32, v8
	v_dual_fmac_f32 v45, v34, v4 :: v_dual_sub_f32 v34, v24, v25
	v_fmac_f32_e32 v39, v28, v14
	v_fma_f32 v28, v29, v10, -v42
	v_fma_f32 v29, v33, v4, -v44
	v_add_f32_e32 v18, v54, v24
	v_add_f32_e32 v32, v55, v37
	v_fmac_f32_e32 v47, v19, v6
	v_dual_add_f32 v19, v24, v25 :: v_dual_sub_f32 v44, v27, v28
	v_add_f32_e32 v42, v22, v29
	v_sub_f32_e32 v38, v41, v43
	v_sub_f32_e32 v31, v37, v39
	v_add_f32_e32 v33, v37, v39
	v_dual_add_f32 v37, v27, v28 :: v_dual_add_f32 v46, v29, v30
	v_add_f32_e32 v40, v57, v41
	v_fma_f32 v24, -0.5, v19, v54
	v_add_f32_e32 v49, v23, v45
	s_delay_alu instid0(VALU_DEP_4)
	v_fma_f32 v56, -0.5, v37, v56
	v_add_f32_e32 v41, v41, v43
	v_dual_sub_f32 v50, v29, v30 :: v_dual_add_f32 v19, v32, v39
	v_add_f32_e32 v18, v18, v25
	v_sub_f32_e32 v48, v45, v47
	v_dual_add_f32 v42, v42, v30 :: v_dual_add_f32 v27, v36, v28
	v_fmamk_f32 v29, v31, 0x3f5db3d7, v24
	v_fmac_f32_e32 v24, 0xbf5db3d7, v31
	v_fmamk_f32 v31, v38, 0x3f5db3d7, v56
	v_fmac_f32_e32 v56, 0xbf5db3d7, v38
	v_dual_add_f32 v28, v40, v43 :: v_dual_fmac_f32 v57, -0.5, v41
	v_add_f32_e32 v45, v45, v47
	v_fma_f32 v25, -0.5, v33, v55
	v_fma_f32 v22, -0.5, v46, v22
	s_delay_alu instid0(VALU_DEP_4) | instskip(NEXT) | instid1(VALU_DEP_4)
	v_dual_add_f32 v43, v49, v47 :: v_dual_fmamk_f32 v32, v44, 0xbf5db3d7, v57
	v_fmac_f32_e32 v23, -0.5, v45
	s_delay_alu instid0(VALU_DEP_4) | instskip(SKIP_2) | instid1(VALU_DEP_4)
	v_fmamk_f32 v30, v34, 0xbf5db3d7, v25
	v_fmac_f32_e32 v25, 0x3f5db3d7, v34
	v_dual_fmac_f32 v57, 0x3f5db3d7, v44 :: v_dual_fmamk_f32 v44, v48, 0x3f5db3d7, v22
	v_dual_fmac_f32 v22, 0xbf5db3d7, v48 :: v_dual_fmamk_f32 v45, v50, 0xbf5db3d7, v23
	v_fmac_f32_e32 v23, 0x3f5db3d7, v50
	ds_store_2addr_b64 v108, v[18:19], v[29:30] offset1:6
	ds_store_b64 v108, v[24:25] offset:96
	ds_store_2addr_b64 v106, v[27:28], v[31:32] offset1:6
	ds_store_b64 v106, v[56:57] offset:96
	;; [unrolled: 2-line block ×3, first 2 shown]
	global_wb scope:SCOPE_SE
	s_wait_dscnt 0x0
	s_barrier_signal -1
	s_barrier_wait -1
	global_inv scope:SCOPE_SE
	ds_load_2addr_b64 v[36:39], v93 offset1:198
	ds_load_2addr_b64 v[48:51], v35 offset0:12 offset1:210
	ds_load_b64 v[52:53], v93 offset:6336
	s_and_saveexec_b32 s1, s0
	s_cbranch_execz .LBB0_9
; %bb.8:
	v_add_nc_u32_e32 v18, 0xf00, v93
	v_add_nc_u32_e32 v19, 0x200, v93
	ds_load_2addr_b64 v[44:47], v18 offset0:26 offset1:224
	ds_load_2addr_b64 v[40:43], v19 offset0:46 offset1:244
	ds_load_b64 v[20:21], v93 offset:7216
	s_wait_dscnt 0x2
	v_dual_mov_b32 v22, v46 :: v_dual_mov_b32 v23, v47
	s_wait_dscnt 0x1
	v_dual_mov_b32 v56, v40 :: v_dual_mov_b32 v57, v41
.LBB0_9:
	s_wait_alu 0xfffe
	s_or_b32 exec_lo, exec_lo, s1
	v_mul_lo_u16 v17, v17, 57
	v_mul_lo_u16 v16, v16, 57
	s_delay_alu instid0(VALU_DEP_2) | instskip(NEXT) | instid1(VALU_DEP_2)
	v_lshrrev_b16 v40, 10, v17
	v_lshrrev_b16 v95, 10, v16
	s_delay_alu instid0(VALU_DEP_2) | instskip(SKIP_1) | instid1(VALU_DEP_2)
	v_mul_lo_u16 v17, v40, 18
	v_and_b32_e32 v40, 0xffff, v40
	v_sub_nc_u16 v16, v94, v17
	s_delay_alu instid0(VALU_DEP_4) | instskip(NEXT) | instid1(VALU_DEP_3)
	v_mul_lo_u16 v17, v95, 18
	v_mul_u32_u24_e32 v40, 0x5a, v40
	s_delay_alu instid0(VALU_DEP_3) | instskip(NEXT) | instid1(VALU_DEP_3)
	v_and_b32_e32 v41, 0xff, v16
	v_sub_nc_u16 v16, v26, v17
	s_delay_alu instid0(VALU_DEP_2) | instskip(NEXT) | instid1(VALU_DEP_4)
	v_lshlrev_b32_e32 v17, 5, v41
	v_add_lshl_u32 v107, v40, v41, 3
	global_load_b128 v[32:35], v17, s[2:3] offset:128
	s_wait_loadcnt_dscnt 0x2
	v_dual_mul_f32 v41, v38, v33 :: v_dual_and_b32 v96, 0xff, v16
	s_wait_dscnt 0x1
	s_delay_alu instid0(VALU_DEP_1)
	v_dual_mul_f32 v47, v48, v35 :: v_dual_lshlrev_b32 v16, 5, v96
	v_mul_f32_e32 v46, v49, v35
	s_clause 0x2
	global_load_b128 v[28:31], v17, s[2:3] offset:144
	global_load_b128 v[24:27], v16, s[2:3] offset:128
	;; [unrolled: 1-line block ×3, first 2 shown]
	v_mul_f32_e32 v40, v39, v33
	global_wb scope:SCOPE_SE
	s_wait_loadcnt_dscnt 0x0
	s_barrier_signal -1
	s_barrier_wait -1
	global_inv scope:SCOPE_SE
	v_fma_f32 v38, v38, v32, -v40
	v_fmac_f32_e32 v41, v39, v32
	v_fma_f32 v39, v48, v34, -v46
	s_delay_alu instid0(VALU_DEP_1)
	v_sub_f32_e32 v48, v38, v39
	v_mul_f32_e32 v62, v52, v31
	v_dual_mul_f32 v54, v51, v29 :: v_dual_mul_f32 v61, v45, v27
	v_dual_mul_f32 v55, v50, v29 :: v_dual_mul_f32 v58, v53, v31
	v_mul_f32_e32 v59, v43, v25
	v_dual_mul_f32 v60, v42, v25 :: v_dual_mul_f32 v63, v44, v27
	v_dual_mul_f32 v64, v23, v17 :: v_dual_mul_f32 v65, v21, v19
	v_mul_f32_e32 v69, v22, v17
	v_dual_mul_f32 v91, v20, v19 :: v_dual_fmac_f32 v62, v53, v30
	s_delay_alu instid0(VALU_DEP_4)
	v_dual_fmac_f32 v47, v49, v34 :: v_dual_fmac_f32 v60, v43, v24
	v_fma_f32 v40, v50, v28, -v54
	v_fmac_f32_e32 v55, v51, v28
	v_fma_f32 v46, v52, v30, -v58
	v_fma_f32 v42, v42, v24, -v59
	;; [unrolled: 1-line block ×3, first 2 shown]
	v_sub_f32_e32 v44, v41, v62
	v_dual_fmac_f32 v63, v45, v26 :: v_dual_add_f32 v54, v47, v55
	v_fma_f32 v22, v22, v16, -v64
	v_dual_fmac_f32 v69, v23, v16 :: v_dual_add_f32 v50, v38, v46
	v_fma_f32 v20, v20, v18, -v65
	v_dual_fmac_f32 v91, v21, v18 :: v_dual_sub_f32 v92, v39, v40
	v_dual_add_f32 v21, v36, v38 :: v_dual_sub_f32 v58, v41, v47
	v_dual_add_f32 v23, v39, v40 :: v_dual_sub_f32 v52, v40, v46
	v_dual_sub_f32 v49, v46, v40 :: v_dual_add_f32 v64, v41, v62
	v_dual_sub_f32 v51, v39, v38 :: v_dual_add_f32 v112, v42, v20
	v_dual_add_f32 v53, v37, v41 :: v_dual_add_f32 v68, v56, v42
	v_dual_sub_f32 v59, v62, v55 :: v_dual_add_f32 v70, v43, v22
	v_dual_sub_f32 v41, v47, v41 :: v_dual_sub_f32 v114, v22, v20
	v_sub_f32_e32 v65, v55, v62
	v_dual_sub_f32 v71, v42, v43 :: v_dual_add_f32 v116, v63, v69
	v_dual_add_f32 v115, v57, v60 :: v_dual_add_f32 v120, v60, v91
	v_dual_sub_f32 v45, v47, v55 :: v_dual_sub_f32 v38, v38, v46
	v_dual_sub_f32 v109, v60, v91 :: v_dual_sub_f32 v110, v63, v69
	;; [unrolled: 1-line block ×5, first 2 shown]
	v_sub_f32_e32 v119, v91, v69
	v_sub_f32_e32 v121, v63, v60
	v_add_f32_e32 v21, v21, v39
	v_fma_f32 v60, -0.5, v23, v36
	v_add_f32_e32 v23, v48, v49
	v_fma_f32 v66, -0.5, v50, v36
	;; [unrolled: 2-line block ×3, first 2 shown]
	v_dual_fmamk_f32 v54, v44, 0x3f737871, v60 :: v_dual_add_f32 v47, v58, v59
	v_fma_f32 v67, -0.5, v64, v37
	v_fmamk_f32 v64, v45, 0xbf737871, v66
	v_fma_f32 v58, -0.5, v70, v56
	v_dual_fmac_f32 v56, -0.5, v112 :: v_dual_add_f32 v37, v41, v65
	v_dual_add_f32 v41, v68, v43 :: v_dual_fmac_f32 v66, 0x3f737871, v45
	s_delay_alu instid0(VALU_DEP_3)
	v_dual_add_f32 v49, v115, v63 :: v_dual_fmamk_f32 v68, v109, 0x3f737871, v58
	v_fma_f32 v59, -0.5, v116, v57
	v_dual_fmac_f32 v57, -0.5, v120 :: v_dual_fmac_f32 v58, 0xbf737871, v109
	v_add_f32_e32 v36, v51, v52
	v_dual_add_f32 v43, v71, v111 :: v_dual_add_f32 v22, v41, v22
	v_add_f32_e32 v21, v21, v40
	v_dual_fmac_f32 v60, 0xbf737871, v44 :: v_dual_add_f32 v39, v39, v55
	v_dual_add_f32 v40, v49, v69 :: v_dual_fmamk_f32 v65, v92, 0x3f737871, v67
	v_dual_fmac_f32 v67, 0xbf737871, v92 :: v_dual_fmamk_f32 v70, v110, 0xbf737871, v56
	v_fmac_f32_e32 v56, 0x3f737871, v110
	v_dual_fmamk_f32 v55, v38, 0xbf737871, v61 :: v_dual_add_f32 v52, v21, v46
	v_fmac_f32_e32 v61, 0x3f737871, v38
	v_fmamk_f32 v69, v42, 0xbf737871, v59
	v_fmac_f32_e32 v59, 0x3f737871, v42
	v_fmamk_f32 v71, v117, 0x3f737871, v57
	v_dual_fmac_f32 v57, 0xbf737871, v117 :: v_dual_add_f32 v48, v113, v114
	v_dual_add_f32 v50, v118, v119 :: v_dual_add_f32 v51, v121, v122
	v_fmac_f32_e32 v54, 0x3f167918, v45
	v_dual_fmac_f32 v60, 0xbf167918, v45 :: v_dual_add_f32 v53, v39, v62
	v_dual_fmac_f32 v64, 0x3f167918, v44 :: v_dual_fmac_f32 v67, 0x3f167918, v38
	v_dual_fmac_f32 v66, 0xbf167918, v44 :: v_dual_fmac_f32 v65, 0xbf167918, v38
	;; [unrolled: 1-line block ×3, first 2 shown]
	v_add_f32_e32 v62, v22, v20
	v_dual_fmac_f32 v61, 0x3f167918, v92 :: v_dual_fmac_f32 v68, 0x3f167918, v110
	v_dual_fmac_f32 v70, 0x3f167918, v109 :: v_dual_add_f32 v63, v40, v91
	v_dual_fmac_f32 v56, 0xbf167918, v109 :: v_dual_fmac_f32 v71, 0xbf167918, v42
	v_fmac_f32_e32 v69, 0xbf167918, v117
	v_fmac_f32_e32 v59, 0x3f167918, v117
	;; [unrolled: 1-line block ×3, first 2 shown]
	v_dual_fmac_f32 v54, 0x3e9e377a, v23 :: v_dual_fmac_f32 v65, 0x3e9e377a, v37
	v_dual_fmac_f32 v60, 0x3e9e377a, v23 :: v_dual_fmac_f32 v67, 0x3e9e377a, v37
	;; [unrolled: 1-line block ×8, first 2 shown]
	ds_store_2addr_b64 v107, v[52:53], v[54:55] offset1:18
	ds_store_2addr_b64 v107, v[64:65], v[66:67] offset0:36 offset1:54
	ds_store_b64 v107, v[60:61] offset:576
	s_and_saveexec_b32 s1, s0
	s_cbranch_execz .LBB0_11
; %bb.10:
	v_and_b32_e32 v20, 0xffff, v95
	s_delay_alu instid0(VALU_DEP_1) | instskip(NEXT) | instid1(VALU_DEP_1)
	v_mul_u32_u24_e32 v20, 0x5a, v20
	v_add_lshl_u32 v20, v20, v96, 3
	ds_store_2addr_b64 v20, v[62:63], v[68:69] offset1:18
	ds_store_2addr_b64 v20, v[70:71], v[56:57] offset0:36 offset1:54
	ds_store_b64 v20, v[58:59] offset:576
.LBB0_11:
	s_wait_alu 0xfffe
	s_or_b32 exec_lo, exec_lo, s1
	v_cmp_gt_u16_e64 s1, 0x5a, v94
	global_wb scope:SCOPE_SE
	s_wait_dscnt 0x0
	s_barrier_signal -1
	s_barrier_wait -1
	global_inv scope:SCOPE_SE
                                        ; implicit-def: $vgpr91
	s_and_saveexec_b32 s10, s1
	s_cbranch_execz .LBB0_13
; %bb.12:
	v_add_nc_u32_e32 v20, 0x1400, v93
	v_add_nc_u32_e32 v21, 0x400, v93
	v_add_nc_u32_e32 v22, 0x800, v93
	ds_load_2addr_b64 v[56:59], v20 offset0:80 offset1:170
	v_add_nc_u32_e32 v20, 0x1000, v93
	ds_load_2addr_b64 v[52:55], v93 offset1:90
	ds_load_b64 v[91:92], v93 offset:7200
	ds_load_2addr_b64 v[64:67], v21 offset0:52 offset1:142
	ds_load_2addr_b64 v[60:63], v22 offset0:104 offset1:194
	;; [unrolled: 1-line block ×3, first 2 shown]
.LBB0_13:
	s_wait_alu 0xfffe
	s_or_b32 exec_lo, exec_lo, s10
	v_add_nc_u32_e32 v20, 0xffffffa6, v94
	s_delay_alu instid0(VALU_DEP_1) | instskip(NEXT) | instid1(VALU_DEP_1)
	v_cndmask_b32_e64 v20, v20, v94, s1
	v_mul_i32_i24_e32 v21, 0x50, v20
	v_mul_hi_i32_i24_e32 v20, 0x50, v20
	s_delay_alu instid0(VALU_DEP_2) | instskip(SKIP_1) | instid1(VALU_DEP_2)
	v_add_co_u32 v48, s2, s2, v21
	s_wait_alu 0xf1ff
	v_add_co_ci_u32_e64 v49, s2, s3, v20, s2
	s_clause 0x4
	global_load_b128 v[44:47], v[48:49], off offset:704
	global_load_b128 v[36:39], v[48:49], off offset:720
	;; [unrolled: 1-line block ×5, first 2 shown]
	s_wait_loadcnt_dscnt 0x404
	v_mul_f32_e32 v119, v55, v45
	s_wait_dscnt 0x2
	v_dual_mul_f32 v118, v54, v45 :: v_dual_mul_f32 v121, v65, v47
	s_wait_loadcnt 0x3
	v_dual_mul_f32 v117, v64, v47 :: v_dual_mul_f32 v122, v67, v37
	s_wait_loadcnt 0x0
	v_dual_mul_f32 v110, v58, v49 :: v_dual_mul_f32 v129, v92, v51
	s_wait_dscnt 0x0
	v_dual_mul_f32 v114, v62, v21 :: v_dual_mul_f32 v125, v69, v23
	v_dual_mul_f32 v113, v68, v23 :: v_dual_mul_f32 v126, v71, v41
	;; [unrolled: 1-line block ×4, first 2 shown]
	v_fma_f32 v120, v54, v44, -v119
	v_fma_f32 v54, v91, v50, -v129
	v_dual_mul_f32 v109, v91, v51 :: v_dual_mul_f32 v116, v66, v37
	v_mul_f32_e32 v123, v61, v39
	v_dual_mul_f32 v115, v60, v39 :: v_dual_mul_f32 v124, v63, v21
	v_dual_fmac_f32 v118, v55, v44 :: v_dual_fmac_f32 v117, v65, v46
	v_dual_fmac_f32 v114, v63, v20 :: v_dual_fmac_f32 v113, v69, v22
	;; [unrolled: 1-line block ×3, first 2 shown]
	v_sub_f32_e32 v142, v120, v54
	v_dual_fmac_f32 v112, v71, v40 :: v_dual_fmac_f32 v109, v92, v50
	v_fma_f32 v119, v64, v46, -v121
	v_dual_fmac_f32 v116, v67, v36 :: v_dual_fmac_f32 v115, v61, v38
	v_fma_f32 v64, v60, v38, -v123
	v_fma_f32 v62, v62, v20, -v124
	;; [unrolled: 1-line block ×4, first 2 shown]
	v_dual_sub_f32 v135, v118, v109 :: v_dual_sub_f32 v138, v117, v110
	v_sub_f32_e32 v157, v114, v113
	v_fma_f32 v55, v58, v48, -v128
	v_dual_add_f32 v57, v120, v54 :: v_dual_add_f32 v58, v118, v109
	v_dual_sub_f32 v158, v64, v60 :: v_dual_add_f32 v123, v62, v61
	v_dual_sub_f32 v150, v115, v112 :: v_dual_sub_f32 v159, v62, v61
	s_delay_alu instid0(VALU_DEP_2) | instskip(SKIP_1) | instid1(VALU_DEP_3)
	v_dual_mul_f32 v131, 0xbf0a6770, v135 :: v_dual_mul_f32 v160, 0xbf0a6770, v158
	v_mul_f32_e32 v154, 0xbf7d64f0, v135
	v_dual_mul_f32 v136, 0x3f0a6770, v157 :: v_dual_mul_f32 v143, 0x3f0a6770, v159
	v_fma_f32 v65, v66, v36, -v122
	v_fma_f32 v56, v56, v42, -v127
	v_dual_sub_f32 v151, v119, v55 :: v_dual_fmamk_f32 v68, v57, 0x3f575c64, v131
	s_delay_alu instid0(VALU_DEP_4) | instskip(SKIP_1) | instid1(VALU_DEP_4)
	v_fmamk_f32 v185, v123, 0x3f575c64, v136
	v_mul_f32_e32 v133, 0xbf0a6770, v142
	v_dual_add_f32 v59, v119, v55 :: v_dual_add_f32 v66, v65, v56
	v_dual_add_f32 v63, v117, v110 :: v_dual_sub_f32 v146, v116, v111
	v_dual_sub_f32 v156, v65, v56 :: v_dual_mul_f32 v139, 0xbf68dda4, v135
	v_mul_f32_e32 v126, 0xbf68dda4, v138
	v_dual_mul_f32 v147, 0xbf68dda4, v142 :: v_dual_mul_f32 v134, 0xbf68dda4, v151
	v_add_f32_e32 v68, v52, v68
	v_fma_f32 v69, 0x3f575c64, v58, -v133
	v_mul_f32_e32 v162, 0xbf7d64f0, v142
	v_dual_fmamk_f32 v70, v57, 0x3ed4b147, v139 :: v_dual_fmamk_f32 v165, v59, 0x3ed4b147, v126
	v_mul_f32_e32 v163, 0x3e903f40, v151
	v_fma_f32 v71, 0x3ed4b147, v58, -v147
	v_fma_f32 v166, 0x3ed4b147, v63, -v134
	s_delay_alu instid0(VALU_DEP_4) | instskip(SKIP_4) | instid1(VALU_DEP_3)
	v_dual_add_f32 v70, v52, v70 :: v_dual_add_f32 v69, v53, v69
	v_mul_f32_e32 v148, 0xbf4178ce, v151
	v_fma_f32 v92, 0xbe11bafb, v58, -v162
	v_dual_add_f32 v67, v116, v111 :: v_dual_add_f32 v122, v115, v112
	v_dual_mul_f32 v155, 0x3e903f40, v138 :: v_dual_mul_f32 v144, 0x3e903f40, v156
	v_dual_mul_f32 v141, 0x3e903f40, v146 :: v_dual_add_f32 v92, v53, v92
	v_dual_mul_f32 v152, 0x3f68dda4, v146 :: v_dual_add_f32 v71, v53, v71
	v_fma_f32 v170, 0xbf75a155, v63, -v163
	v_add_f32_e32 v69, v166, v69
	v_fma_f32 v168, 0xbf27a4f4, v63, -v148
	v_dual_add_f32 v121, v64, v60 :: v_dual_add_f32 v124, v114, v113
	v_dual_mul_f32 v127, 0xbf7d64f0, v146 :: v_dual_mul_f32 v132, 0xbf7d64f0, v156
	s_delay_alu instid0(VALU_DEP_3)
	v_dual_mul_f32 v130, 0xbf4178ce, v158 :: v_dual_add_f32 v71, v168, v71
	v_dual_mul_f32 v137, 0x3f7d64f0, v150 :: v_dual_add_f32 v68, v165, v68
	;; [unrolled: 1-line block ×3, first 2 shown]
	v_fmamk_f32 v91, v57, 0xbe11bafb, v154
	v_mul_f32_e32 v164, 0x3f68dda4, v156
	v_fma_f32 v174, 0xbf75a155, v67, -v144
	v_dual_mul_f32 v128, 0xbf4178ce, v150 :: v_dual_mul_f32 v161, 0xbf4178ce, v159
	v_fmamk_f32 v179, v121, 0xbe11bafb, v137
	v_fmamk_f32 v171, v66, 0xbe11bafb, v127
	v_fma_f32 v180, 0xbe11bafb, v122, -v145
	v_add_f32_e32 v91, v52, v91
	v_fma_f32 v176, 0x3ed4b147, v67, -v164
	v_dual_add_f32 v71, v174, v71 :: v_dual_mul_f32 v140, 0xbf4178ce, v138
	v_mul_f32_e32 v153, 0xbf4178ce, v157
	v_dual_mul_f32 v149, 0xbf0a6770, v150 :: v_dual_add_f32 v68, v171, v68
	v_fma_f32 v182, 0x3f575c64, v122, -v160
	v_fma_f32 v186, 0x3f575c64, v124, -v143
	v_add_f32_e32 v92, v176, v92
	v_add_f32_e32 v71, v180, v71
	v_fmamk_f32 v177, v121, 0xbf27a4f4, v128
	v_fmamk_f32 v169, v59, 0xbf75a155, v155
	v_fma_f32 v172, 0xbe11bafb, v67, -v132
	v_add_f32_e32 v166, v182, v92
	v_dual_add_f32 v92, v186, v71 :: v_dual_fmamk_f32 v167, v59, 0xbf27a4f4, v140
	v_dual_add_f32 v68, v177, v68 :: v_dual_mul_f32 v125, 0xbe903f40, v157
	v_fmamk_f32 v187, v123, 0xbf27a4f4, v153
	s_delay_alu instid0(VALU_DEP_3) | instskip(SKIP_1) | instid1(VALU_DEP_4)
	v_dual_fmamk_f32 v175, v66, 0x3ed4b147, v152 :: v_dual_add_f32 v70, v167, v70
	v_add_f32_e32 v91, v169, v91
	v_fmamk_f32 v183, v123, 0xbf75a155, v125
	v_fmamk_f32 v173, v66, 0xbf75a155, v141
	v_fma_f32 v178, 0xbf27a4f4, v122, -v130
	v_fmamk_f32 v181, v121, 0x3f575c64, v149
	s_delay_alu instid0(VALU_DEP_4) | instskip(NEXT) | instid1(VALU_DEP_4)
	v_dual_add_f32 v69, v172, v69 :: v_dual_add_f32 v68, v183, v68
	v_dual_mul_f32 v129, 0xbe903f40, v159 :: v_dual_add_f32 v70, v173, v70
	v_add_f32_e32 v91, v175, v91
	v_fma_f32 v188, 0xbf27a4f4, v124, -v161
	s_delay_alu instid0(VALU_DEP_4) | instskip(NEXT) | instid1(VALU_DEP_4)
	v_add_f32_e32 v69, v178, v69
	v_fma_f32 v184, 0xbf75a155, v124, -v129
	s_delay_alu instid0(VALU_DEP_4) | instskip(NEXT) | instid1(VALU_DEP_4)
	v_dual_add_f32 v70, v179, v70 :: v_dual_add_f32 v165, v181, v91
	v_add_f32_e32 v71, v188, v166
	s_delay_alu instid0(VALU_DEP_3) | instskip(NEXT) | instid1(VALU_DEP_3)
	v_add_f32_e32 v69, v184, v69
	v_dual_add_f32 v91, v185, v70 :: v_dual_add_f32 v70, v187, v165
	s_and_saveexec_b32 s2, s1
	s_cbranch_execz .LBB0_15
; %bb.14:
	v_mul_f32_e32 v199, 0xbe903f40, v135
	v_dual_mul_f32 v184, 0xbf75a155, v67 :: v_dual_mul_f32 v165, 0xbf75a155, v58
	v_mul_f32_e32 v167, 0x3f575c64, v63
	s_delay_alu instid0(VALU_DEP_3) | instskip(SKIP_2) | instid1(VALU_DEP_4)
	v_dual_mul_f32 v193, 0xbf75a155, v123 :: v_dual_fmamk_f32 v202, v57, 0xbf75a155, v199
	v_fma_f32 v199, 0xbf75a155, v57, -v199
	v_dual_mul_f32 v196, 0xbf27a4f4, v67 :: v_dual_mul_f32 v201, 0xbf27a4f4, v124
	v_fmamk_f32 v168, v151, 0xbf0a6770, v167
	v_fmac_f32_e32 v167, 0x3f0a6770, v151
	s_delay_alu instid0(VALU_DEP_4)
	v_dual_fmamk_f32 v166, v142, 0x3e903f40, v165 :: v_dual_add_f32 v199, v52, v199
	v_fmac_f32_e32 v165, 0xbe903f40, v142
	v_mul_f32_e32 v186, 0x3ed4b147, v67
	v_mul_f32_e32 v200, 0x3ed4b147, v122
	;; [unrolled: 1-line block ×3, first 2 shown]
	v_dual_mul_f32 v197, 0x3f575c64, v124 :: v_dual_add_f32 v202, v52, v202
	v_dual_add_f32 v165, v53, v165 :: v_dual_mul_f32 v206, 0xbf4178ce, v146
	v_mul_f32_e32 v135, 0xbf4178ce, v135
	v_mul_f32_e32 v198, 0xbf27a4f4, v123
	v_dual_mul_f32 v179, 0xbf75a155, v59 :: v_dual_mul_f32 v194, 0xbf75a155, v124
	s_delay_alu instid0(VALU_DEP_4) | instskip(SKIP_2) | instid1(VALU_DEP_4)
	v_add_f32_e32 v165, v167, v165
	v_dual_mul_f32 v175, 0x3ed4b147, v59 :: v_dual_add_f32 v166, v53, v166
	v_dual_mul_f32 v173, 0xbe11bafb, v57 :: v_dual_mul_f32 v174, 0xbe11bafb, v58
	v_sub_f32_e32 v155, v179, v155
	v_dual_mul_f32 v177, 0xbf27a4f4, v59 :: v_dual_mul_f32 v188, 0xbf27a4f4, v122
	s_delay_alu instid0(VALU_DEP_4)
	v_add_f32_e32 v166, v168, v166
	v_fmamk_f32 v168, v156, 0x3f4178ce, v196
	v_mul_f32_e32 v195, 0x3f575c64, v123
	v_fmac_f32_e32 v196, 0xbf4178ce, v156
	v_mul_f32_e32 v203, 0x3f0a6770, v138
	v_mul_f32_e32 v156, 0xbf0a6770, v156
	v_add_f32_e32 v166, v168, v166
	v_fmamk_f32 v168, v158, 0xbf68dda4, v200
	v_dual_add_f32 v196, v196, v165 :: v_dual_mul_f32 v207, 0x3f68dda4, v150
	v_mul_f32_e32 v138, 0x3f7d64f0, v138
	v_add_f32_e32 v162, v162, v174
	s_delay_alu instid0(VALU_DEP_4) | instskip(SKIP_4) | instid1(VALU_DEP_4)
	v_add_f32_e32 v166, v168, v166
	v_fmamk_f32 v168, v159, 0x3f7d64f0, v204
	v_fmamk_f32 v205, v59, 0x3f575c64, v203
	v_dual_mul_f32 v180, 0xbf75a155, v63 :: v_dual_mul_f32 v183, 0xbf75a155, v66
	v_sub_f32_e32 v140, v177, v140
	v_add_f32_e32 v166, v168, v166
	s_delay_alu instid0(VALU_DEP_4) | instskip(SKIP_3) | instid1(VALU_DEP_4)
	v_dual_add_f32 v202, v205, v202 :: v_dual_fmamk_f32 v205, v66, 0xbf27a4f4, v206
	v_dual_add_f32 v118, v53, v118 :: v_dual_mul_f32 v189, 0xbe11bafb, v121
	v_mul_f32_e32 v190, 0xbe11bafb, v122
	v_dual_mul_f32 v191, 0x3f575c64, v121 :: v_dual_mul_f32 v192, 0x3f575c64, v122
	v_add_f32_e32 v168, v205, v202
	v_fmamk_f32 v202, v121, 0x3ed4b147, v207
	v_mul_f32_e32 v205, 0xbf7d64f0, v157
	v_dual_mul_f32 v157, 0x3f68dda4, v157 :: v_dual_add_f32 v120, v52, v120
	v_dual_mul_f32 v169, 0x3f575c64, v57 :: v_dual_mul_f32 v170, 0x3f575c64, v58
	s_delay_alu instid0(VALU_DEP_3)
	v_dual_add_f32 v167, v202, v168 :: v_dual_fmamk_f32 v168, v123, 0xbe11bafb, v205
	v_fma_f32 v202, 0x3f575c64, v59, -v203
	v_fmac_f32_e32 v200, 0x3f68dda4, v158
	v_mul_f32_e32 v203, 0xbf4178ce, v142
	v_dual_mul_f32 v176, 0x3ed4b147, v63 :: v_dual_mul_f32 v185, 0x3ed4b147, v66
	v_add_f32_e32 v165, v168, v167
	v_add_f32_e32 v142, v202, v199
	v_fma_f32 v167, 0xbf27a4f4, v66, -v206
	v_add_f32_e32 v168, v200, v196
	v_fmamk_f32 v196, v58, 0xbf27a4f4, v203
	v_mul_f32_e32 v199, 0x3f7d64f0, v151
	v_fma_f32 v151, 0x3ed4b147, v121, -v207
	v_add_f32_e32 v142, v167, v142
	v_fma_f32 v200, 0xbf27a4f4, v57, -v135
	s_delay_alu instid0(VALU_DEP_4) | instskip(SKIP_1) | instid1(VALU_DEP_4)
	v_dual_add_f32 v167, v53, v196 :: v_dual_fmamk_f32 v196, v63, 0xbe11bafb, v199
	v_add_f32_e32 v143, v143, v197
	v_add_f32_e32 v142, v151, v142
	v_dual_sub_f32 v154, v173, v154 :: v_dual_add_f32 v117, v118, v117
	s_delay_alu instid0(VALU_DEP_4) | instskip(SKIP_2) | instid1(VALU_DEP_4)
	v_add_f32_e32 v151, v196, v167
	v_fmamk_f32 v167, v67, 0x3f575c64, v156
	v_fma_f32 v196, 0xbe11bafb, v123, -v205
	v_add_f32_e32 v154, v52, v154
	v_dual_mul_f32 v158, 0xbe903f40, v158 :: v_dual_sub_f32 v149, v191, v149
	s_delay_alu instid0(VALU_DEP_4) | instskip(NEXT) | instid1(VALU_DEP_4)
	v_add_f32_e32 v151, v167, v151
	v_add_f32_e32 v167, v196, v142
	;; [unrolled: 1-line block ×3, first 2 shown]
	v_fma_f32 v196, 0xbe11bafb, v59, -v138
	v_mul_f32_e32 v146, 0xbf0a6770, v146
	v_dual_add_f32 v145, v145, v190 :: v_dual_add_f32 v118, v120, v119
	v_add_f32_e32 v116, v117, v116
	s_delay_alu instid0(VALU_DEP_4)
	v_add_f32_e32 v142, v196, v142
	v_mul_f32_e32 v196, 0xbe903f40, v150
	v_add_f32_e32 v150, v53, v162
	v_add_f32_e32 v162, v163, v180
	v_fma_f32 v174, 0x3f575c64, v66, -v146
	v_dual_add_f32 v160, v160, v192 :: v_dual_add_f32 v133, v133, v170
	v_dual_add_f32 v154, v155, v154 :: v_dual_add_f32 v65, v118, v65
	s_delay_alu instid0(VALU_DEP_4) | instskip(SKIP_3) | instid1(VALU_DEP_3)
	v_add_f32_e32 v150, v162, v150
	v_dual_add_f32 v162, v164, v186 :: v_dual_sub_f32 v137, v189, v137
	v_dual_sub_f32 v152, v185, v152 :: v_dual_add_f32 v115, v116, v115
	v_fmamk_f32 v202, v122, 0xbf75a155, v158
	v_add_f32_e32 v162, v162, v150
	v_fmac_f32_e32 v204, 0xbf7d64f0, v159
	v_dual_mul_f32 v159, 0x3f68dda4, v159 :: v_dual_add_f32 v142, v174, v142
	s_delay_alu instid0(VALU_DEP_4) | instskip(SKIP_2) | instid1(VALU_DEP_4)
	v_add_f32_e32 v151, v202, v151
	v_fma_f32 v174, 0xbf75a155, v121, -v196
	v_dual_mul_f32 v171, 0x3ed4b147, v57 :: v_dual_mul_f32 v172, 0x3ed4b147, v58
	v_fmamk_f32 v163, v124, 0x3ed4b147, v159
	s_delay_alu instid0(VALU_DEP_3) | instskip(SKIP_1) | instid1(VALU_DEP_3)
	v_dual_sub_f32 v131, v169, v131 :: v_dual_add_f32 v142, v174, v142
	v_dual_mul_f32 v178, 0xbf27a4f4, v63 :: v_dual_mul_f32 v187, 0xbf27a4f4, v121
	v_add_f32_e32 v151, v163, v151
	v_fma_f32 v163, 0x3ed4b147, v123, -v157
	s_delay_alu instid0(VALU_DEP_4) | instskip(NEXT) | instid1(VALU_DEP_4)
	v_dual_add_f32 v131, v52, v131 :: v_dual_sub_f32 v126, v175, v126
	v_dual_add_f32 v148, v148, v178 :: v_dual_add_f32 v65, v65, v64
	s_delay_alu instid0(VALU_DEP_3) | instskip(NEXT) | instid1(VALU_DEP_3)
	v_add_f32_e32 v150, v163, v142
	v_dual_add_f32 v142, v147, v172 :: v_dual_add_f32 v119, v126, v131
	v_add_f32_e32 v147, v160, v162
	v_dual_add_f32 v168, v204, v168 :: v_dual_sub_f32 v139, v171, v139
	s_delay_alu instid0(VALU_DEP_3) | instskip(SKIP_1) | instid1(VALU_DEP_3)
	v_dual_add_f32 v155, v53, v142 :: v_dual_add_f32 v144, v144, v184
	v_dual_fmac_f32 v135, 0xbf27a4f4, v57 :: v_dual_add_f32 v62, v65, v62
	v_add_f32_e32 v139, v52, v139
	s_delay_alu instid0(VALU_DEP_3) | instskip(NEXT) | instid1(VALU_DEP_3)
	v_dual_add_f32 v148, v148, v155 :: v_dual_sub_f32 v65, v193, v125
	v_dual_add_f32 v114, v115, v114 :: v_dual_add_f32 v61, v62, v61
	v_dual_mul_f32 v181, 0xbe11bafb, v66 :: v_dual_mul_f32 v182, 0xbe11bafb, v67
	s_delay_alu instid0(VALU_DEP_3) | instskip(SKIP_1) | instid1(VALU_DEP_4)
	v_add_f32_e32 v144, v144, v148
	v_fma_f32 v58, 0xbf27a4f4, v58, -v203
	v_add_f32_e32 v57, v114, v113
	v_dual_add_f32 v139, v140, v139 :: v_dual_sub_f32 v140, v183, v141
	v_dual_fmac_f32 v138, 0xbe11bafb, v59 :: v_dual_add_f32 v59, v61, v60
	s_delay_alu instid0(VALU_DEP_3) | instskip(NEXT) | instid1(VALU_DEP_3)
	v_dual_add_f32 v132, v132, v182 :: v_dual_add_f32 v57, v57, v112
	v_dual_add_f32 v139, v140, v139 :: v_dual_add_f32 v134, v134, v176
	s_delay_alu instid0(VALU_DEP_3)
	v_add_f32_e32 v56, v59, v56
	v_add_f32_e32 v140, v53, v133
	;; [unrolled: 1-line block ×3, first 2 shown]
	v_fma_f32 v58, 0xbe11bafb, v63, -v199
	v_add_f32_e32 v144, v145, v144
	v_add_f32_e32 v57, v57, v111
	;; [unrolled: 1-line block ×3, first 2 shown]
	s_delay_alu instid0(VALU_DEP_4) | instskip(SKIP_1) | instid1(VALU_DEP_4)
	v_dual_sub_f32 v120, v181, v127 :: v_dual_add_f32 v53, v58, v53
	v_fma_f32 v58, 0x3f575c64, v67, -v156
	v_dual_sub_f32 v136, v195, v136 :: v_dual_add_f32 v57, v57, v110
	v_dual_add_f32 v55, v56, v55 :: v_dual_add_f32 v134, v134, v140
	s_delay_alu instid0(VALU_DEP_3) | instskip(SKIP_4) | instid1(VALU_DEP_4)
	v_add_f32_e32 v53, v58, v53
	v_fma_f32 v58, 0xbf75a155, v122, -v158
	v_add_f32_e32 v130, v130, v188
	v_add_f32_e32 v52, v52, v135
	v_dual_fmac_f32 v196, 0xbf75a155, v121 :: v_dual_add_f32 v117, v129, v194
	v_add_f32_e32 v56, v58, v53
	v_add_f32_e32 v53, v57, v109
	v_dual_add_f32 v118, v120, v119 :: v_dual_add_nc_u32 v57, 0x800, v93
	v_dual_sub_f32 v119, v187, v128 :: v_dual_add_f32 v142, v160, v147
	v_dual_add_f32 v147, v152, v154 :: v_dual_add_f32 v52, v138, v52
	s_delay_alu instid0(VALU_DEP_2) | instskip(NEXT) | instid1(VALU_DEP_2)
	v_dual_fmac_f32 v157, 0x3ed4b147, v123 :: v_dual_add_f32 v116, v119, v118
	v_dual_add_f32 v132, v132, v134 :: v_dual_add_f32 v147, v149, v147
	v_dual_fmac_f32 v146, 0x3f575c64, v66 :: v_dual_sub_f32 v149, v198, v153
	s_delay_alu instid0(VALU_DEP_3) | instskip(NEXT) | instid1(VALU_DEP_3)
	v_add_f32_e32 v63, v65, v116
	v_dual_add_f32 v126, v130, v132 :: v_dual_add_f32 v137, v137, v139
	s_delay_alu instid0(VALU_DEP_3) | instskip(SKIP_2) | instid1(VALU_DEP_4)
	v_add_f32_e32 v52, v146, v52
	v_fma_f32 v58, 0x3ed4b147, v124, -v159
	v_add_f32_e32 v141, v149, v147
	v_dual_add_f32 v133, v143, v144 :: v_dual_add_f32 v132, v136, v137
	s_delay_alu instid0(VALU_DEP_4) | instskip(NEXT) | instid1(VALU_DEP_4)
	v_dual_add_f32 v59, v196, v52 :: v_dual_add_f32 v52, v55, v54
	v_dual_add_f32 v55, v58, v56 :: v_dual_add_nc_u32 v56, 0x400, v93
	v_add_nc_u32_e32 v58, 0x1000, v93
	s_delay_alu instid0(VALU_DEP_3)
	v_dual_add_f32 v54, v157, v59 :: v_dual_add_nc_u32 v59, 0x1400, v93
	v_add_f32_e32 v64, v117, v126
	ds_store_2addr_b64 v93, v[52:53], v[63:64] offset1:90
	ds_store_2addr_b64 v56, v[132:133], v[141:142] offset0:52 offset1:142
	ds_store_2addr_b64 v57, v[150:151], v[167:168] offset0:104 offset1:194
	;; [unrolled: 1-line block ×4, first 2 shown]
	ds_store_b64 v93, v[68:69] offset:7200
.LBB0_15:
	s_wait_alu 0xfffe
	s_or_b32 exec_lo, exec_lo, s2
	global_wb scope:SCOPE_SE
	s_wait_dscnt 0x0
	s_barrier_signal -1
	s_barrier_wait -1
	global_inv scope:SCOPE_SE
	global_load_b64 v[56:57], v[73:74], off offset:7920
	s_add_nc_u64 s[2:3], s[16:17], 0x1ef0
	s_clause 0x6
	global_load_b64 v[58:59], v93, s[2:3] offset:880
	global_load_b64 v[65:66], v93, s[2:3] offset:3960
	global_load_b64 v[117:118], v93, s[2:3] offset:4840
	global_load_b64 v[119:120], v93, s[2:3] offset:1760
	global_load_b64 v[121:122], v93, s[2:3] offset:5720
	global_load_b64 v[123:124], v93, s[2:3] offset:2640
	global_load_b64 v[125:126], v93, s[2:3] offset:6600
	ds_load_2addr_b64 v[52:55], v93 offset1:110
	s_wait_loadcnt_dscnt 0x700
	v_mul_f32_e32 v60, v53, v57
	v_mul_f32_e32 v61, v52, v57
	v_add_nc_u32_e32 v57, 0xc00, v93
	s_delay_alu instid0(VALU_DEP_2)
	v_fmac_f32_e32 v61, v53, v56
	s_wait_loadcnt 0x6
	v_mul_f32_e32 v53, v54, v59
	v_fma_f32 v60, v52, v56, -v60
	v_add_nc_u32_e32 v56, 0x400, v93
	v_mul_f32_e32 v52, v55, v59
	s_delay_alu instid0(VALU_DEP_4)
	v_fmac_f32_e32 v53, v55, v58
	ds_store_b64 v93, v[60:61]
	v_add_nc_u32_e32 v60, 0x1400, v93
	ds_load_2addr_b64 v[61:64], v57 offset0:111 offset1:221
	ds_load_2addr_b64 v[109:112], v56 offset0:92 offset1:202
	;; [unrolled: 1-line block ×3, first 2 shown]
	v_add_nc_u32_e32 v127, 0x800, v93
	v_fma_f32 v52, v54, v58, -v52
	s_wait_loadcnt_dscnt 0x402
	v_dual_mul_f32 v58, v64, v118 :: v_dual_add_nc_u32 v67, 0x1000, v93
	v_mul_f32_e32 v54, v62, v66
	s_wait_loadcnt_dscnt 0x101
	v_dual_mul_f32 v55, v61, v66 :: v_dual_mul_f32 v130, v112, v124
	v_dual_mul_f32 v59, v63, v118 :: v_dual_mul_f32 v66, v109, v120
	v_mul_f32_e32 v128, v110, v120
	s_wait_dscnt 0x0
	v_dual_mul_f32 v129, v114, v122 :: v_dual_mul_f32 v120, v111, v124
	v_dual_mul_f32 v118, v113, v122 :: v_dual_fmac_f32 v55, v62, v65
	s_wait_loadcnt 0x0
	v_mul_f32_e32 v124, v116, v126
	v_dual_mul_f32 v122, v115, v126 :: v_dual_fmac_f32 v59, v64, v117
	v_fma_f32 v54, v61, v65, -v54
	v_fma_f32 v65, v109, v119, -v128
	v_fmac_f32_e32 v66, v110, v119
	v_fma_f32 v58, v63, v117, -v58
	v_fma_f32 v117, v113, v121, -v129
	v_fmac_f32_e32 v118, v114, v121
	v_fma_f32 v119, v111, v123, -v130
	v_fmac_f32_e32 v120, v112, v123
	;; [unrolled: 2-line block ×3, first 2 shown]
	ds_store_2addr_b64 v93, v[52:53], v[65:66] offset0:110 offset1:220
	ds_store_2addr_b64 v67, v[58:59], v[117:118] offset0:93 offset1:203
	;; [unrolled: 1-line block ×3, first 2 shown]
	ds_store_b64 v93, v[121:122] offset:6600
	s_and_saveexec_b32 s10, vcc_lo
	s_cbranch_execz .LBB0_17
; %bb.16:
	s_wait_alu 0xfffe
	v_add_co_u32 v52, s2, s2, v93
	s_wait_alu 0xf1ff
	v_add_co_ci_u32_e64 v53, null, s3, 0, s2
	s_clause 0x1
	global_load_b64 v[54:55], v[52:53], off offset:3520
	global_load_b64 v[52:53], v[52:53], off offset:7480
	ds_load_b64 v[58:59], v93 offset:3520
	ds_load_b64 v[61:62], v93 offset:7480
	s_wait_loadcnt_dscnt 0x101
	v_mul_f32_e32 v63, v59, v55
	s_wait_loadcnt_dscnt 0x0
	v_dual_mul_f32 v64, v58, v55 :: v_dual_mul_f32 v55, v61, v53
	v_mul_f32_e32 v65, v62, v53
	s_delay_alu instid0(VALU_DEP_3) | instskip(NEXT) | instid1(VALU_DEP_3)
	v_fma_f32 v63, v58, v54, -v63
	v_dual_fmac_f32 v64, v59, v54 :: v_dual_fmac_f32 v55, v62, v52
	s_delay_alu instid0(VALU_DEP_3)
	v_fma_f32 v54, v61, v52, -v65
	ds_store_b64 v93, v[63:64] offset:3520
	ds_store_b64 v93, v[54:55] offset:7480
.LBB0_17:
	s_wait_alu 0xfffe
	s_or_b32 exec_lo, exec_lo, s10
	global_wb scope:SCOPE_SE
	s_wait_dscnt 0x0
	s_barrier_signal -1
	s_barrier_wait -1
	global_inv scope:SCOPE_SE
	ds_load_2addr_b64 v[52:55], v93 offset1:110
	ds_load_2addr_b64 v[64:67], v57 offset0:111 offset1:221
	ds_load_2addr_b64 v[56:59], v56 offset0:92 offset1:202
	;; [unrolled: 1-line block ×3, first 2 shown]
	v_add_nc_u32_e32 v101, 0x14a0, v101
	s_and_saveexec_b32 s2, vcc_lo
	s_cbranch_execz .LBB0_19
; %bb.18:
	ds_load_b64 v[70:71], v93 offset:3520
	ds_load_b64 v[91:92], v93 offset:7480
.LBB0_19:
	s_wait_alu 0xfffe
	s_or_b32 exec_lo, exec_lo, s2
	s_wait_dscnt 0x2
	v_dual_sub_f32 v111, v52, v64 :: v_dual_sub_f32 v112, v53, v65
	s_wait_dscnt 0x0
	v_dual_sub_f32 v115, v56, v60 :: v_dual_sub_f32 v116, v57, v61
	v_dual_sub_f32 v66, v54, v66 :: v_dual_sub_f32 v67, v55, v67
	;; [unrolled: 1-line block ×3, first 2 shown]
	v_fma_f32 v109, v52, 2.0, -v111
	v_fma_f32 v110, v53, 2.0, -v112
	;; [unrolled: 1-line block ×4, first 2 shown]
	v_dual_sub_f32 v56, v70, v91 :: v_dual_sub_f32 v57, v71, v92
	v_fma_f32 v64, v54, 2.0, -v66
	v_fma_f32 v65, v55, 2.0, -v67
	;; [unrolled: 1-line block ×4, first 2 shown]
	global_wb scope:SCOPE_SE
	s_barrier_signal -1
	s_barrier_wait -1
	global_inv scope:SCOPE_SE
	ds_store_b128 v98, v[109:112]
	ds_store_b128 v99, v[64:67]
	;; [unrolled: 1-line block ×4, first 2 shown]
	s_and_saveexec_b32 s2, vcc_lo
	s_cbranch_execz .LBB0_21
; %bb.20:
	v_fma_f32 v55, v71, 2.0, -v57
	v_fma_f32 v54, v70, 2.0, -v56
	ds_store_b128 v97, v[54:57]
.LBB0_21:
	s_wait_alu 0xfffe
	s_or_b32 exec_lo, exec_lo, s2
	global_wb scope:SCOPE_SE
	s_wait_dscnt 0x0
	s_barrier_signal -1
	s_barrier_wait -1
	global_inv scope:SCOPE_SE
	ds_load_b64 v[66:67], v93 offset:7040
	v_add_nc_u32_e32 v70, 0x400, v93
	v_add_nc_u32_e32 v71, 0x1400, v93
	s_wait_dscnt 0x0
	v_dual_mul_f32 v92, v3, v67 :: v_dual_add_nc_u32 v91, 0xc00, v93
	v_mul_f32_e32 v101, v3, v66
	ds_load_2addr_b64 v[52:55], v70 offset0:92 offset1:202
	ds_load_2addr_b64 v[58:61], v71 offset0:20 offset1:130
	;; [unrolled: 1-line block ×3, first 2 shown]
	ds_load_2addr_b64 v[97:100], v93 offset1:110
	global_wb scope:SCOPE_SE
	s_wait_dscnt 0x0
	s_barrier_signal -1
	s_barrier_wait -1
	global_inv scope:SCOPE_SE
	v_fmac_f32_e32 v92, v2, v66
	v_fma_f32 v66, v2, v67, -v101
	v_mul_f32_e32 v110, v1, v54
	v_dual_mul_f32 v109, v1, v55 :: v_dual_mul_f32 v112, v3, v58
	v_dual_mul_f32 v111, v3, v59 :: v_dual_mul_f32 v114, v1, v62
	v_mul_f32_e32 v113, v1, v63
	s_delay_alu instid0(VALU_DEP_3)
	v_dual_mul_f32 v116, v1, v65 :: v_dual_fmac_f32 v109, v0, v54
	v_mul_f32_e32 v115, v3, v61
	v_fma_f32 v54, v0, v55, -v110
	v_fmac_f32_e32 v111, v2, v58
	v_mul_f32_e32 v3, v3, v60
	v_fma_f32 v55, v2, v59, -v112
	v_mul_f32_e32 v1, v1, v64
	v_fmac_f32_e32 v113, v0, v62
	v_fmac_f32_e32 v116, v0, v64
	v_fma_f32 v61, v2, v61, -v3
	v_sub_f32_e32 v3, v54, v55
	v_dual_fmac_f32 v115, v2, v60 :: v_dual_add_f32 v2, v109, v111
	v_fma_f32 v59, v0, v63, -v114
	v_add_f32_e32 v58, v54, v55
	v_fma_f32 v62, v0, v65, -v1
	v_dual_add_f32 v1, v97, v109 :: v_dual_add_f32 v60, v98, v54
	v_fma_f32 v0, -0.5, v2, v97
	v_dual_sub_f32 v64, v59, v61 :: v_dual_add_f32 v65, v52, v116
	s_delay_alu instid0(VALU_DEP_4) | instskip(NEXT) | instid1(VALU_DEP_3)
	v_sub_f32_e32 v67, v62, v66
	v_dual_add_f32 v97, v53, v62 :: v_dual_fmamk_f32 v54, v3, 0xbf5db3d7, v0
	v_sub_f32_e32 v63, v109, v111
	v_add_f32_e32 v2, v1, v111
	v_fma_f32 v1, -0.5, v58, v98
	v_fmac_f32_e32 v0, 0x3f5db3d7, v3
	v_add_f32_e32 v58, v113, v115
	v_dual_add_f32 v3, v60, v55 :: v_dual_add_f32 v60, v99, v113
	s_delay_alu instid0(VALU_DEP_4) | instskip(SKIP_1) | instid1(VALU_DEP_4)
	v_fmamk_f32 v55, v63, 0x3f5db3d7, v1
	v_fmac_f32_e32 v1, 0xbf5db3d7, v63
	v_fma_f32 v99, -0.5, v58, v99
	s_delay_alu instid0(VALU_DEP_4) | instskip(SKIP_1) | instid1(VALU_DEP_3)
	v_dual_add_f32 v63, v59, v61 :: v_dual_add_f32 v58, v60, v115
	v_sub_f32_e32 v98, v116, v92
	v_fmamk_f32 v60, v64, 0xbf5db3d7, v99
	v_fmac_f32_e32 v99, 0x3f5db3d7, v64
	v_add_f32_e32 v64, v116, v92
	s_delay_alu instid0(VALU_DEP_1) | instskip(NEXT) | instid1(VALU_DEP_1)
	v_fma_f32 v52, -0.5, v64, v52
	v_dual_add_f32 v59, v100, v59 :: v_dual_fmamk_f32 v64, v67, 0xbf5db3d7, v52
	s_delay_alu instid0(VALU_DEP_1) | instskip(SKIP_2) | instid1(VALU_DEP_2)
	v_dual_fmac_f32 v100, -0.5, v63 :: v_dual_add_f32 v59, v59, v61
	v_sub_f32_e32 v63, v113, v115
	v_fmac_f32_e32 v52, 0x3f5db3d7, v67
	v_fmamk_f32 v61, v63, 0x3f5db3d7, v100
	v_dual_fmac_f32 v100, 0xbf5db3d7, v63 :: v_dual_add_f32 v63, v62, v66
	s_delay_alu instid0(VALU_DEP_1) | instskip(SKIP_1) | instid1(VALU_DEP_2)
	v_dual_add_f32 v62, v65, v92 :: v_dual_fmac_f32 v53, -0.5, v63
	v_add_f32_e32 v63, v97, v66
	v_fmamk_f32 v65, v98, 0x3f5db3d7, v53
	v_fmac_f32_e32 v53, 0xbf5db3d7, v98
	ds_store_2addr_b64 v104, v[2:3], v[54:55] offset1:2
	ds_store_b64 v104, v[0:1] offset:32
	ds_store_2addr_b64 v103, v[58:59], v[60:61] offset1:2
	ds_store_b64 v103, v[99:100] offset:32
	;; [unrolled: 2-line block ×3, first 2 shown]
	global_wb scope:SCOPE_SE
	s_wait_dscnt 0x0
	s_barrier_signal -1
	s_barrier_wait -1
	global_inv scope:SCOPE_SE
	ds_load_2addr_b64 v[0:3], v70 offset0:92 offset1:202
	ds_load_2addr_b64 v[58:61], v71 offset0:20 offset1:130
	;; [unrolled: 1-line block ×3, first 2 shown]
	ds_load_b64 v[66:67], v93 offset:7040
	ds_load_2addr_b64 v[52:55], v93 offset1:110
	global_wb scope:SCOPE_SE
	s_wait_dscnt 0x0
	s_barrier_signal -1
	s_barrier_wait -1
	global_inv scope:SCOPE_SE
	v_mul_f32_e32 v70, v13, v3
	v_mul_f32_e32 v13, v13, v2
	s_delay_alu instid0(VALU_DEP_2) | instskip(NEXT) | instid1(VALU_DEP_2)
	v_fmac_f32_e32 v70, v12, v2
	v_fma_f32 v3, v12, v3, -v13
	v_mul_f32_e32 v12, v9, v63
	v_mul_f32_e32 v2, v15, v58
	s_delay_alu instid0(VALU_DEP_2) | instskip(NEXT) | instid1(VALU_DEP_2)
	v_dual_fmac_f32 v12, v8, v62 :: v_dual_mul_f32 v71, v15, v59
	v_fma_f32 v13, v14, v59, -v2
	s_delay_alu instid0(VALU_DEP_2) | instskip(SKIP_1) | instid1(VALU_DEP_1)
	v_dual_mul_f32 v2, v11, v60 :: v_dual_fmac_f32 v71, v14, v58
	v_mul_f32_e32 v14, v11, v61
	v_fmac_f32_e32 v14, v10, v60
	s_delay_alu instid0(VALU_DEP_3) | instskip(SKIP_3) | instid1(VALU_DEP_3)
	v_fma_f32 v10, v10, v61, -v2
	v_mul_f32_e32 v15, v7, v67
	v_mul_f32_e32 v2, v7, v66
	v_sub_f32_e32 v7, v3, v13
	v_fmac_f32_e32 v15, v6, v66
	s_delay_alu instid0(VALU_DEP_3) | instskip(SKIP_1) | instid1(VALU_DEP_1)
	v_fma_f32 v59, v6, v67, -v2
	v_dual_add_f32 v6, v3, v13 :: v_dual_mul_f32 v9, v9, v62
	v_fma_f32 v8, v8, v63, -v9
	v_mul_f32_e32 v9, v5, v65
	s_delay_alu instid0(VALU_DEP_2) | instskip(NEXT) | instid1(VALU_DEP_1)
	v_dual_mul_f32 v5, v5, v64 :: v_dual_sub_f32 v60, v8, v10
	v_fma_f32 v58, v4, v65, -v5
	v_add_f32_e32 v5, v52, v70
	s_delay_alu instid0(VALU_DEP_4) | instskip(NEXT) | instid1(VALU_DEP_1)
	v_dual_fmac_f32 v9, v4, v64 :: v_dual_add_f32 v4, v70, v71
	v_fma_f32 v2, -0.5, v4, v52
	s_delay_alu instid0(VALU_DEP_3)
	v_add_f32_e32 v4, v5, v71
	v_add_f32_e32 v5, v53, v3
	v_fma_f32 v3, -0.5, v6, v53
	v_dual_add_f32 v52, v54, v12 :: v_dual_add_f32 v53, v8, v10
	v_dual_add_f32 v8, v55, v8 :: v_dual_sub_f32 v11, v70, v71
	v_fmamk_f32 v6, v7, 0xbf5db3d7, v2
	s_delay_alu instid0(VALU_DEP_3) | instskip(NEXT) | instid1(VALU_DEP_3)
	v_dual_fmac_f32 v2, 0x3f5db3d7, v7 :: v_dual_fmac_f32 v55, -0.5, v53
	v_fmamk_f32 v7, v11, 0x3f5db3d7, v3
	v_fmac_f32_e32 v3, 0xbf5db3d7, v11
	v_add_f32_e32 v11, v52, v14
	v_dual_sub_f32 v52, v12, v14 :: v_dual_add_f32 v5, v5, v13
	v_add_f32_e32 v13, v12, v14
	v_add_f32_e32 v12, v8, v10
	;; [unrolled: 1-line block ×4, first 2 shown]
	v_fmamk_f32 v14, v52, 0x3f5db3d7, v55
	v_fma_f32 v54, -0.5, v13, v54
	v_dual_fmac_f32 v55, 0xbf5db3d7, v52 :: v_dual_add_f32 v52, v0, v9
	v_fma_f32 v0, -0.5, v8, v0
	v_dual_sub_f32 v8, v58, v59 :: v_dual_add_f32 v53, v1, v58
	v_dual_fmac_f32 v1, -0.5, v10 :: v_dual_sub_f32 v58, v9, v15
	v_fmamk_f32 v13, v60, 0xbf5db3d7, v54
	v_fmac_f32_e32 v54, 0x3f5db3d7, v60
	v_add_f32_e32 v60, v52, v15
	v_fmamk_f32 v9, v8, 0xbf5db3d7, v0
	v_dual_fmac_f32 v0, 0x3f5db3d7, v8 :: v_dual_add_f32 v61, v53, v59
	v_fmamk_f32 v10, v58, 0x3f5db3d7, v1
	v_fmac_f32_e32 v1, 0xbf5db3d7, v58
	ds_store_2addr_b64 v108, v[4:5], v[6:7] offset1:6
	ds_store_b64 v108, v[2:3] offset:96
	ds_store_2addr_b64 v106, v[11:12], v[13:14] offset1:6
	ds_store_b64 v106, v[54:55] offset:96
	;; [unrolled: 2-line block ×3, first 2 shown]
	global_wb scope:SCOPE_SE
	s_wait_dscnt 0x0
	s_barrier_signal -1
	s_barrier_wait -1
	global_inv scope:SCOPE_SE
	ds_load_2addr_b64 v[5:8], v93 offset1:198
	ds_load_2addr_b64 v[62:65], v91 offset0:12 offset1:210
	ds_load_b64 v[2:3], v93 offset:6336
	s_and_saveexec_b32 s2, s0
	s_cbranch_execz .LBB0_23
; %bb.22:
	v_add_nc_u32_e32 v0, 0xf00, v93
	v_add_nc_u32_e32 v1, 0x200, v93
	ds_load_2addr_b64 v[9:12], v0 offset0:26 offset1:224
	ds_load_2addr_b64 v[58:61], v1 offset0:46 offset1:244
	ds_load_b64 v[56:57], v93 offset:7216
	s_wait_dscnt 0x2
	v_dual_mov_b32 v0, v11 :: v_dual_mov_b32 v1, v12
	s_wait_dscnt 0x1
	v_dual_mov_b32 v54, v58 :: v_dual_mov_b32 v55, v59
.LBB0_23:
	s_wait_alu 0xfffe
	s_or_b32 exec_lo, exec_lo, s2
	s_wait_dscnt 0x1
	v_dual_mul_f32 v11, v33, v8 :: v_dual_mul_f32 v12, v35, v63
	v_dual_mul_f32 v4, v33, v7 :: v_dual_mul_f32 v13, v35, v62
	global_wb scope:SCOPE_SE
	s_wait_dscnt 0x0
	v_dual_fmac_f32 v11, v32, v7 :: v_dual_mul_f32 v14, v29, v65
	v_fma_f32 v7, v32, v8, -v4
	v_dual_mul_f32 v4, v29, v64 :: v_dual_mul_f32 v15, v31, v3
	v_dual_fmac_f32 v12, v34, v62 :: v_dual_mul_f32 v29, v25, v61
	s_delay_alu instid0(VALU_DEP_4) | instskip(NEXT) | instid1(VALU_DEP_3)
	v_fmac_f32_e32 v14, v28, v64
	v_fma_f32 v28, v28, v65, -v4
	s_delay_alu instid0(VALU_DEP_4) | instskip(NEXT) | instid1(VALU_DEP_4)
	v_fmac_f32_e32 v15, v30, v2
	v_dual_mul_f32 v2, v31, v2 :: v_dual_fmac_f32 v29, v24, v60
	v_dual_mul_f32 v4, v25, v60 :: v_dual_mul_f32 v25, v27, v10
	v_mul_f32_e32 v8, v27, v9
	s_delay_alu instid0(VALU_DEP_3) | instskip(SKIP_1) | instid1(VALU_DEP_4)
	v_fma_f32 v27, v30, v3, -v2
	v_dual_mul_f32 v3, v17, v0 :: v_dual_add_f32 v2, v12, v14
	v_fmac_f32_e32 v25, v26, v9
	v_fma_f32 v13, v34, v63, -v13
	v_fma_f32 v24, v24, v61, -v4
	v_dual_mul_f32 v30, v17, v1 :: v_dual_sub_f32 v9, v7, v27
	v_mul_f32_e32 v17, v19, v57
	v_fma_f32 v4, -0.5, v2, v5
	v_fma_f32 v26, v26, v10, -v8
	v_add_f32_e32 v8, v5, v11
	v_fmac_f32_e32 v30, v16, v0
	v_fma_f32 v16, v16, v1, -v3
	v_dual_fmac_f32 v17, v18, v56 :: v_dual_fmamk_f32 v2, v9, 0xbf737871, v4
	v_dual_sub_f32 v1, v13, v28 :: v_dual_add_f32 v10, v11, v15
	v_dual_mul_f32 v19, v19, v56 :: v_dual_fmac_f32 v4, 0x3f737871, v9
	s_barrier_signal -1
	s_barrier_wait -1
	s_delay_alu instid0(VALU_DEP_2)
	v_fma_f32 v10, -0.5, v10, v5
	v_sub_f32_e32 v5, v12, v11
	v_fma_f32 v31, v18, v57, -v19
	v_dual_add_f32 v19, v6, v7 :: v_dual_add_f32 v0, v8, v12
	v_sub_f32_e32 v3, v11, v12
	v_sub_f32_e32 v8, v15, v14
	v_fmac_f32_e32 v2, 0xbf167918, v1
	v_fmac_f32_e32 v4, 0x3f167918, v1
	v_sub_f32_e32 v12, v12, v14
	s_delay_alu instid0(VALU_DEP_4)
	v_dual_sub_f32 v18, v14, v15 :: v_dual_add_f32 v3, v3, v8
	v_fmamk_f32 v8, v1, 0x3f737871, v10
	v_fmac_f32_e32 v10, 0xbf737871, v1
	v_dual_add_f32 v1, v19, v13 :: v_dual_add_f32 v0, v0, v14
	v_sub_f32_e32 v19, v27, v28
	global_inv scope:SCOPE_SE
	v_dual_fmac_f32 v10, 0x3f167918, v9 :: v_dual_add_f32 v1, v1, v28
	v_add_f32_e32 v0, v0, v15
	v_dual_sub_f32 v15, v11, v15 :: v_dual_fmac_f32 v8, 0xbf167918, v9
	v_add_f32_e32 v9, v7, v27
	s_delay_alu instid0(VALU_DEP_4) | instskip(SKIP_2) | instid1(VALU_DEP_4)
	v_add_f32_e32 v1, v1, v27
	v_add_f32_e32 v32, v13, v28
	v_fmac_f32_e32 v2, 0x3e9e377a, v3
	v_fma_f32 v11, -0.5, v9, v6
	s_delay_alu instid0(VALU_DEP_1) | instskip(NEXT) | instid1(VALU_DEP_1)
	v_fmamk_f32 v9, v12, 0xbf737871, v11
	v_dual_fmac_f32 v9, 0x3f167918, v15 :: v_dual_add_f32 v18, v5, v18
	v_fma_f32 v5, -0.5, v32, v6
	v_dual_sub_f32 v14, v7, v13 :: v_dual_fmac_f32 v11, 0x3f737871, v12
	v_sub_f32_e32 v7, v13, v7
	v_sub_f32_e32 v13, v28, v27
	s_delay_alu instid0(VALU_DEP_3)
	v_add_f32_e32 v6, v14, v19
	v_fmac_f32_e32 v4, 0x3e9e377a, v3
	v_fmamk_f32 v3, v15, 0x3f737871, v5
	v_dual_fmac_f32 v5, 0xbf737871, v15 :: v_dual_add_f32 v14, v25, v30
	v_add_f32_e32 v7, v7, v13
	v_sub_f32_e32 v13, v24, v31
	s_delay_alu instid0(VALU_DEP_4)
	v_fmac_f32_e32 v3, 0x3f167918, v12
	v_fmac_f32_e32 v8, 0x3e9e377a, v18
	;; [unrolled: 1-line block ×3, first 2 shown]
	v_dual_fmac_f32 v5, 0xbf167918, v12 :: v_dual_add_f32 v12, v54, v29
	v_fma_f32 v18, -0.5, v14, v54
	v_fmac_f32_e32 v3, 0x3e9e377a, v6
	v_fmac_f32_e32 v9, 0x3e9e377a, v7
	s_delay_alu instid0(VALU_DEP_4) | instskip(SKIP_3) | instid1(VALU_DEP_4)
	v_dual_fmac_f32 v5, 0x3e9e377a, v6 :: v_dual_add_f32 v6, v25, v12
	v_dual_fmac_f32 v11, 0xbf167918, v15 :: v_dual_sub_f32 v14, v29, v25
	v_dual_fmamk_f32 v12, v13, 0xbf737871, v18 :: v_dual_sub_f32 v15, v26, v16
	v_dual_sub_f32 v19, v17, v30 :: v_dual_fmac_f32 v18, 0x3f737871, v13
	v_dual_add_f32 v27, v17, v29 :: v_dual_add_f32 v6, v30, v6
	s_delay_alu instid0(VALU_DEP_3) | instskip(NEXT) | instid1(VALU_DEP_3)
	v_fmac_f32_e32 v12, 0xbf167918, v15
	v_dual_add_f32 v14, v19, v14 :: v_dual_fmac_f32 v11, 0x3e9e377a, v7
	s_delay_alu instid0(VALU_DEP_4) | instskip(NEXT) | instid1(VALU_DEP_4)
	v_fmac_f32_e32 v18, 0x3f167918, v15
	v_dual_fmac_f32 v54, -0.5, v27 :: v_dual_add_f32 v7, v26, v16
	v_add_f32_e32 v6, v17, v6
	s_delay_alu instid0(VALU_DEP_3) | instskip(SKIP_1) | instid1(VALU_DEP_4)
	v_dual_sub_f32 v27, v25, v29 :: v_dual_fmac_f32 v18, 0x3e9e377a, v14
	v_sub_f32_e32 v25, v25, v30
	v_fma_f32 v19, -0.5, v7, v55
	v_sub_f32_e32 v7, v29, v17
	v_sub_f32_e32 v28, v30, v17
	v_fmac_f32_e32 v12, 0x3e9e377a, v14
	v_fmamk_f32 v14, v15, 0x3f737871, v54
	v_fmac_f32_e32 v54, 0xbf737871, v15
	v_add_f32_e32 v15, v24, v55
	ds_store_2addr_b64 v107, v[0:1], v[2:3] offset1:18
	ds_store_2addr_b64 v107, v[8:9], v[10:11] offset0:36 offset1:54
	ds_store_b64 v107, v[4:5] offset:576
	v_dual_fmac_f32 v54, 0x3f167918, v13 :: v_dual_add_f32 v15, v26, v15
	v_fmac_f32_e32 v14, 0xbf167918, v13
	v_fmamk_f32 v13, v7, 0x3f737871, v19
	v_add_f32_e32 v17, v28, v27
	v_add_f32_e32 v27, v31, v24
	v_dual_sub_f32 v28, v31, v16 :: v_dual_fmac_f32 v19, 0xbf737871, v7
	s_delay_alu instid0(VALU_DEP_4) | instskip(NEXT) | instid1(VALU_DEP_3)
	v_fmac_f32_e32 v13, 0x3f167918, v25
	v_dual_fmac_f32 v14, 0x3e9e377a, v17 :: v_dual_fmac_f32 v55, -0.5, v27
	v_dual_sub_f32 v27, v24, v26 :: v_dual_sub_f32 v24, v26, v24
	s_delay_alu instid0(VALU_DEP_1) | instskip(SKIP_1) | instid1(VALU_DEP_4)
	v_dual_fmac_f32 v19, 0xbf167918, v25 :: v_dual_add_f32 v26, v28, v27
	v_dual_fmac_f32 v54, 0x3e9e377a, v17 :: v_dual_add_f32 v17, v16, v15
	v_dual_fmamk_f32 v15, v25, 0xbf737871, v55 :: v_dual_sub_f32 v16, v16, v31
	v_fmac_f32_e32 v55, 0x3f737871, v25
	s_delay_alu instid0(VALU_DEP_4) | instskip(SKIP_1) | instid1(VALU_DEP_4)
	v_fmac_f32_e32 v13, 0x3e9e377a, v26
	v_fmac_f32_e32 v19, 0x3e9e377a, v26
	v_dual_fmac_f32 v15, 0x3f167918, v7 :: v_dual_add_f32 v16, v16, v24
	s_delay_alu instid0(VALU_DEP_4) | instskip(SKIP_1) | instid1(VALU_DEP_3)
	v_fmac_f32_e32 v55, 0xbf167918, v7
	v_add_f32_e32 v7, v31, v17
	v_fmac_f32_e32 v15, 0x3e9e377a, v16
	s_delay_alu instid0(VALU_DEP_3)
	v_fmac_f32_e32 v55, 0x3e9e377a, v16
	s_and_saveexec_b32 s2, s0
	s_cbranch_execz .LBB0_25
; %bb.24:
	v_and_b32_e32 v16, 0xffff, v95
	s_delay_alu instid0(VALU_DEP_1) | instskip(NEXT) | instid1(VALU_DEP_1)
	v_mul_u32_u24_e32 v16, 0x5a, v16
	v_add_lshl_u32 v16, v16, v96, 3
	ds_store_2addr_b64 v16, v[6:7], v[12:13] offset1:18
	ds_store_2addr_b64 v16, v[14:15], v[54:55] offset0:36 offset1:54
	ds_store_b64 v16, v[18:19] offset:576
.LBB0_25:
	s_wait_alu 0xfffe
	s_or_b32 exec_lo, exec_lo, s2
	global_wb scope:SCOPE_SE
	s_wait_dscnt 0x0
	s_barrier_signal -1
	s_barrier_wait -1
	global_inv scope:SCOPE_SE
	s_and_saveexec_b32 s0, s1
	s_cbranch_execz .LBB0_27
; %bb.26:
	v_add_nc_u32_e32 v0, 0x1400, v93
	v_add_nc_u32_e32 v4, 0x400, v93
	;; [unrolled: 1-line block ×3, first 2 shown]
	ds_load_2addr_b64 v[16:19], v0 offset0:80 offset1:170
	s_wait_dscnt 0x0
	v_dual_mov_b32 v54, v16 :: v_dual_add_nc_u32 v5, 0x800, v93
	ds_load_2addr_b64 v[0:3], v93 offset1:90
	ds_load_b64 v[68:69], v93 offset:7200
	ds_load_2addr_b64 v[8:11], v4 offset0:52 offset1:142
	ds_load_2addr_b64 v[4:7], v5 offset0:104 offset1:194
	;; [unrolled: 1-line block ×3, first 2 shown]
	v_mov_b32_e32 v55, v17
.LBB0_27:
	s_wait_alu 0xfffe
	s_or_b32 exec_lo, exec_lo, s0
	s_and_saveexec_b32 s0, s1
	s_cbranch_execz .LBB0_29
; %bb.28:
	s_wait_dscnt 0x3
	v_dual_mul_f32 v16, v45, v3 :: v_dual_mul_f32 v17, v51, v68
	v_dual_mul_f32 v24, v51, v69 :: v_dual_mul_f32 v25, v45, v2
	s_delay_alu instid0(VALU_DEP_2) | instskip(NEXT) | instid1(VALU_DEP_3)
	v_dual_mul_f32 v27, v49, v19 :: v_dual_fmac_f32 v16, v44, v2
	v_fma_f32 v28, v50, v69, -v17
	s_delay_alu instid0(VALU_DEP_3) | instskip(NEXT) | instid1(VALU_DEP_4)
	v_fmac_f32_e32 v24, v50, v68
	v_fma_f32 v17, v44, v3, -v25
	s_wait_dscnt 0x2
	v_dual_fmac_f32 v27, v48, v18 :: v_dual_mul_f32 v26, v47, v9
	s_delay_alu instid0(VALU_DEP_3) | instskip(SKIP_2) | instid1(VALU_DEP_3)
	v_dual_mul_f32 v18, v49, v18 :: v_dual_sub_f32 v3, v16, v24
	s_wait_dscnt 0x1
	v_dual_add_f32 v29, v28, v17 :: v_dual_mul_f32 v44, v21, v7
	v_fmac_f32_e32 v26, v46, v8
	s_delay_alu instid0(VALU_DEP_3) | instskip(SKIP_4) | instid1(VALU_DEP_4)
	v_fma_f32 v18, v48, v19, -v18
	v_dual_mul_f32 v25, 0xbf7d64f0, v3 :: v_dual_mul_f32 v8, v47, v8
	v_mul_f32_e32 v33, v43, v55
	v_dual_mul_f32 v32, v37, v11 :: v_dual_mul_f32 v35, v39, v5
	v_mul_f32_e32 v34, v43, v54
	v_fma_f32 v19, v46, v9, -v8
	v_fmamk_f32 v8, v29, 0xbe11bafb, v25
	v_fmac_f32_e32 v33, v42, v54
	v_fmac_f32_e32 v32, v36, v10
	s_delay_alu instid0(VALU_DEP_4)
	v_dual_sub_f32 v46, v17, v28 :: v_dual_add_f32 v31, v18, v19
	v_sub_f32_e32 v2, v26, v27
	v_fma_f32 v25, 0xbe11bafb, v29, -v25
	v_fmac_f32_e32 v35, v38, v4
	v_fma_f32 v34, v42, v55, -v34
	v_mul_f32_e32 v10, v37, v10
	s_wait_dscnt 0x0
	v_dual_mul_f32 v30, 0x3e903f40, v2 :: v_dual_mul_f32 v37, v41, v15
	v_dual_add_f32 v8, v1, v8 :: v_dual_sub_f32 v43, v32, v33
	v_dual_add_f32 v48, v27, v26 :: v_dual_add_f32 v51, v33, v32
	v_fma_f32 v36, v36, v11, -v10
	s_delay_alu instid0(VALU_DEP_4) | instskip(SKIP_2) | instid1(VALU_DEP_4)
	v_dual_fmac_f32 v37, v40, v14 :: v_dual_mul_f32 v4, v39, v4
	v_dual_mul_f32 v10, v41, v14 :: v_dual_fmamk_f32 v9, v31, 0xbf75a155, v30
	v_dual_mul_f32 v14, 0x3f68dda4, v43 :: v_dual_mul_f32 v45, v23, v13
	v_add_f32_e32 v39, v34, v36
	s_delay_alu instid0(VALU_DEP_4) | instskip(NEXT) | instid1(VALU_DEP_4)
	v_sub_f32_e32 v41, v35, v37
	v_fma_f32 v40, v40, v15, -v10
	v_fma_f32 v38, v38, v5, -v4
	s_delay_alu instid0(VALU_DEP_4) | instskip(NEXT) | instid1(VALU_DEP_4)
	v_dual_add_f32 v4, v9, v8 :: v_dual_fmamk_f32 v5, v39, 0x3ed4b147, v14
	v_dual_mul_f32 v10, 0xbf0a6770, v41 :: v_dual_fmac_f32 v45, v22, v12
	s_delay_alu instid0(VALU_DEP_3) | instskip(SKIP_1) | instid1(VALU_DEP_4)
	v_add_f32_e32 v42, v40, v38
	v_fma_f32 v14, 0x3ed4b147, v39, -v14
	v_add_f32_e32 v4, v5, v4
	v_fma_f32 v30, 0xbf75a155, v31, -v30
	v_sub_f32_e32 v53, v38, v40
	v_dual_fmamk_f32 v5, v42, 0x3f575c64, v10 :: v_dual_add_f32 v54, v37, v35
	v_mul_f32_e32 v59, 0xbf4178ce, v43
	v_mul_f32_e32 v61, 0x3f68dda4, v41
	v_add_f32_e32 v25, v1, v25
	s_delay_alu instid0(VALU_DEP_4)
	v_add_f32_e32 v4, v5, v4
	v_mul_f32_e32 v5, v23, v12
	v_add_f32_e32 v23, v24, v16
	v_fmac_f32_e32 v44, v20, v6
	v_mul_f32_e32 v6, v21, v6
	v_sub_f32_e32 v21, v19, v18
	v_mul_f32_e32 v12, 0xbf7d64f0, v46
	v_fma_f32 v22, v22, v13, -v5
	v_add_f32_e32 v25, v30, v25
	v_add_f32_e32 v17, v17, v1
	v_mul_f32_e32 v13, 0x3e903f40, v21
	v_sub_f32_e32 v47, v44, v45
	v_fma_f32 v5, 0xbe11bafb, v23, -v12
	v_dual_add_f32 v57, v45, v44 :: v_dual_mul_f32 v62, 0x3f0a6770, v21
	s_delay_alu instid0(VALU_DEP_3) | instskip(SKIP_4) | instid1(VALU_DEP_4)
	v_dual_add_f32 v14, v14, v25 :: v_dual_mul_f32 v15, 0xbf4178ce, v47
	v_fma_f32 v20, v20, v7, -v6
	v_sub_f32_e32 v49, v36, v34
	v_add_f32_e32 v5, v0, v5
	v_fma_f32 v6, 0xbf75a155, v48, -v13
	v_dual_mul_f32 v55, 0xbf0a6770, v53 :: v_dual_sub_f32 v56, v20, v22
	v_add_f32_e32 v50, v22, v20
	v_mul_f32_e32 v52, 0x3f68dda4, v49
	v_fma_f32 v64, 0x3f575c64, v48, -v62
	s_delay_alu instid0(VALU_DEP_4)
	v_fma_f32 v9, 0x3f575c64, v54, -v55
	v_mul_f32_e32 v58, 0xbf4178ce, v56
	v_fmamk_f32 v7, v50, 0xbf27a4f4, v15
	v_add_f32_e32 v6, v6, v5
	v_fma_f32 v8, 0x3ed4b147, v51, -v52
	v_mul_f32_e32 v60, 0xbe903f40, v46
	v_mul_f32_e32 v63, 0xbf7d64f0, v47
	v_add_f32_e32 v5, v7, v4
	s_delay_alu instid0(VALU_DEP_4) | instskip(SKIP_3) | instid1(VALU_DEP_4)
	v_dual_mul_f32 v7, 0xbe903f40, v3 :: v_dual_add_f32 v4, v8, v6
	v_mul_f32_e32 v8, 0x3f0a6770, v2
	v_fmac_f32_e32 v12, 0xbe11bafb, v23
	v_fmac_f32_e32 v13, 0xbf75a155, v48
	v_fma_f32 v66, 0xbf75a155, v29, -v7
	v_add_f32_e32 v4, v9, v4
	v_fma_f32 v9, 0xbf27a4f4, v57, -v58
	v_fmamk_f32 v11, v31, 0x3f575c64, v8
	v_fma_f32 v8, 0x3f575c64, v31, -v8
	v_add_f32_e32 v12, v0, v12
	v_mul_f32_e32 v92, 0x3f575c64, v50
	v_add_f32_e32 v4, v9, v4
	v_fma_f32 v9, 0xbf75a155, v23, -v60
	v_fmamk_f32 v6, v29, 0xbf75a155, v7
	v_fma_f32 v25, 0x3f575c64, v42, -v10
	v_mul_f32_e32 v70, 0xbe903f40, v53
	s_delay_alu instid0(VALU_DEP_4) | instskip(NEXT) | instid1(VALU_DEP_4)
	v_dual_add_f32 v12, v13, v12 :: v_dual_add_f32 v9, v0, v9
	v_dual_add_f32 v6, v1, v6 :: v_dual_fmamk_f32 v95, v47, 0xbf0a6770, v92
	s_delay_alu instid0(VALU_DEP_4) | instskip(NEXT) | instid1(VALU_DEP_2)
	v_dual_fmac_f32 v52, 0x3ed4b147, v51 :: v_dual_add_f32 v13, v25, v14
	v_dual_add_f32 v9, v64, v9 :: v_dual_add_f32 v6, v11, v6
	v_fmamk_f32 v11, v39, 0xbf27a4f4, v59
	v_mul_f32_e32 v25, 0xbf27a4f4, v31
	v_fma_f32 v15, 0xbf27a4f4, v50, -v15
	v_add_f32_e32 v12, v52, v12
	v_fmac_f32_e32 v58, 0xbf27a4f4, v57
	v_dual_add_f32 v6, v11, v6 :: v_dual_fmamk_f32 v11, v42, 0x3ed4b147, v61
	v_mul_f32_e32 v65, 0xbf4178ce, v49
	v_fmac_f32_e32 v55, 0x3f575c64, v54
	v_dual_add_f32 v13, v15, v13 :: v_dual_mul_f32 v52, 0xbf75a155, v39
	v_add_f32_e32 v17, v19, v17
	v_dual_add_f32 v6, v11, v6 :: v_dual_fmamk_f32 v11, v50, 0xbe11bafb, v63
	v_fma_f32 v64, 0xbf27a4f4, v51, -v65
	v_dual_add_f32 v12, v55, v12 :: v_dual_mul_f32 v55, 0xbf68dda4, v46
	s_delay_alu instid0(VALU_DEP_3) | instskip(SKIP_1) | instid1(VALU_DEP_4)
	v_dual_add_f32 v16, v0, v16 :: v_dual_add_f32 v7, v11, v6
	v_dual_add_f32 v6, v1, v66 :: v_dual_mul_f32 v67, 0x3f68dda4, v53
	v_dual_add_f32 v9, v64, v9 :: v_dual_mul_f32 v64, 0xbf7d64f0, v56
	v_fmac_f32_e32 v62, 0x3f575c64, v48
	s_delay_alu instid0(VALU_DEP_3) | instskip(NEXT) | instid1(VALU_DEP_4)
	v_add_f32_e32 v6, v8, v6
	v_fma_f32 v11, 0x3ed4b147, v54, -v67
	v_fmac_f32_e32 v60, 0xbf75a155, v23
	v_fma_f32 v8, 0xbf27a4f4, v39, -v59
	v_fmac_f32_e32 v67, 0x3ed4b147, v54
	v_fmac_f32_e32 v65, 0xbf27a4f4, v51
	v_add_f32_e32 v9, v11, v9
	v_fma_f32 v11, 0xbe11bafb, v57, -v64
	v_add_f32_e32 v59, v0, v60
	v_add_f32_e32 v8, v8, v6
	v_fma_f32 v60, 0x3ed4b147, v42, -v61
	v_mul_f32_e32 v61, 0xbf27a4f4, v29
	s_delay_alu instid0(VALU_DEP_4) | instskip(SKIP_1) | instid1(VALU_DEP_3)
	v_dual_add_f32 v6, v11, v9 :: v_dual_add_f32 v9, v62, v59
	v_fma_f32 v11, 0xbe11bafb, v50, -v63
	v_dual_add_f32 v8, v60, v8 :: v_dual_fmamk_f32 v59, v3, 0x3f4178ce, v61
	v_mul_f32_e32 v60, 0xbe11bafb, v31
	s_delay_alu instid0(VALU_DEP_4) | instskip(NEXT) | instid1(VALU_DEP_3)
	v_dual_add_f32 v62, v65, v9 :: v_dual_mul_f32 v63, 0xbf4178ce, v46
	v_dual_add_f32 v9, v11, v8 :: v_dual_add_f32 v8, v1, v59
	v_fmac_f32_e32 v64, 0xbe11bafb, v57
	s_delay_alu instid0(VALU_DEP_3)
	v_dual_add_f32 v62, v67, v62 :: v_dual_fmamk_f32 v11, v2, 0xbf7d64f0, v60
	v_mul_f32_e32 v59, 0x3f575c64, v39
	v_mul_f32_e32 v67, 0x3ed4b147, v50
	;; [unrolled: 1-line block ×3, first 2 shown]
	v_fmamk_f32 v15, v43, 0xbe903f40, v52
	v_dual_add_f32 v11, v11, v8 :: v_dual_add_f32 v8, v64, v62
	v_fmamk_f32 v62, v23, 0xbf27a4f4, v63
	v_fmamk_f32 v65, v43, 0x3f0a6770, v59
	;; [unrolled: 1-line block ×3, first 2 shown]
	v_dual_add_f32 v16, v26, v16 :: v_dual_fmac_f32 v59, 0xbf0a6770, v43
	s_delay_alu instid0(VALU_DEP_4) | instskip(NEXT) | instid1(VALU_DEP_4)
	v_add_f32_e32 v62, v0, v62
	v_dual_mul_f32 v66, 0xbf75a155, v42 :: v_dual_add_f32 v11, v65, v11
	v_dual_add_f32 v12, v58, v12 :: v_dual_mul_f32 v91, 0x3e903f40, v49
	v_fmac_f32_e32 v52, 0x3e903f40, v43
	s_delay_alu instid0(VALU_DEP_3)
	v_fmamk_f32 v65, v41, 0x3e903f40, v66
	v_fmac_f32_e32 v66, 0xbe903f40, v41
	v_mul_f32_e32 v71, 0xbf4178ce, v21
	v_mul_f32_e32 v39, 0xbe11bafb, v39
	v_add_f32_e32 v17, v36, v17
	v_add_f32_e32 v11, v65, v11
	v_fmamk_f32 v65, v47, 0xbf68dda4, v67
	v_mul_f32_e32 v64, 0x3f7d64f0, v21
	v_fmac_f32_e32 v61, 0xbf4178ce, v3
	v_dual_add_f32 v17, v38, v17 :: v_dual_mul_f32 v38, 0xbf75a155, v50
	s_delay_alu instid0(VALU_DEP_3) | instskip(SKIP_1) | instid1(VALU_DEP_3)
	v_dual_add_f32 v11, v65, v11 :: v_dual_fmamk_f32 v68, v48, 0xbe11bafb, v64
	v_fmamk_f32 v65, v54, 0xbf75a155, v70
	v_add_f32_e32 v17, v20, v17
	v_fmac_f32_e32 v31, 0xbf68dda4, v2
	s_delay_alu instid0(VALU_DEP_4) | instskip(NEXT) | instid1(VALU_DEP_3)
	v_dual_add_f32 v62, v68, v62 :: v_dual_mul_f32 v69, 0xbf0a6770, v49
	v_dual_add_f32 v17, v22, v17 :: v_dual_mul_f32 v22, 0xbe903f40, v56
	s_delay_alu instid0(VALU_DEP_1) | instskip(SKIP_1) | instid1(VALU_DEP_2)
	v_dual_fmamk_f32 v68, v51, 0x3f575c64, v69 :: v_dual_add_f32 v17, v40, v17
	v_add_f32_e32 v40, v1, v61
	v_add_f32_e32 v62, v68, v62
	v_mul_f32_e32 v68, 0x3f68dda4, v56
	s_delay_alu instid0(VALU_DEP_2) | instskip(NEXT) | instid1(VALU_DEP_2)
	v_dual_add_f32 v30, v65, v62 :: v_dual_mul_f32 v65, 0x3ed4b147, v29
	v_fmamk_f32 v62, v57, 0x3ed4b147, v68
	v_dual_mul_f32 v29, 0x3f575c64, v29 :: v_dual_add_f32 v16, v32, v16
	v_fmac_f32_e32 v67, 0x3f68dda4, v47
	s_delay_alu instid0(VALU_DEP_4) | instskip(NEXT) | instid1(VALU_DEP_4)
	v_fmamk_f32 v14, v3, 0x3f68dda4, v65
	v_add_f32_e32 v10, v62, v30
	v_fmamk_f32 v62, v23, 0x3ed4b147, v55
	v_fmamk_f32 v96, v3, 0x3f0a6770, v29
	s_delay_alu instid0(VALU_DEP_4) | instskip(SKIP_1) | instid1(VALU_DEP_4)
	v_dual_fmac_f32 v65, 0xbf68dda4, v3 :: v_dual_add_f32 v14, v1, v14
	v_add_f32_e32 v16, v35, v16
	v_add_f32_e32 v58, v0, v62
	s_delay_alu instid0(VALU_DEP_4) | instskip(SKIP_4) | instid1(VALU_DEP_4)
	v_add_f32_e32 v96, v1, v96
	v_fmamk_f32 v30, v2, 0x3f4178ce, v25
	v_fmamk_f32 v62, v48, 0xbf27a4f4, v71
	v_dual_add_f32 v16, v44, v16 :: v_dual_fmac_f32 v29, 0xbf0a6770, v3
	v_mul_f32_e32 v46, 0xbf0a6770, v46
	v_add_f32_e32 v14, v30, v14
	s_delay_alu instid0(VALU_DEP_3) | instskip(SKIP_2) | instid1(VALU_DEP_3)
	v_dual_mul_f32 v30, 0xbe11bafb, v42 :: v_dual_add_f32 v35, v45, v16
	v_fmac_f32_e32 v60, 0x3f7d64f0, v2
	v_dual_mul_f32 v32, 0xbf4178ce, v53 :: v_dual_fmac_f32 v25, 0xbf4178ce, v2
	v_dual_add_f32 v14, v15, v14 :: v_dual_fmamk_f32 v15, v41, 0xbf7d64f0, v30
	v_mul_f32_e32 v42, 0xbf27a4f4, v42
	v_fmac_f32_e32 v92, 0x3f0a6770, v47
	v_fma_f32 v3, 0x3f575c64, v23, -v46
	v_add_f32_e32 v34, v34, v17
	v_add_f32_e32 v14, v15, v14
	v_dual_add_f32 v15, v62, v58 :: v_dual_fmamk_f32 v58, v51, 0xbf75a155, v91
	s_delay_alu instid0(VALU_DEP_3) | instskip(SKIP_2) | instid1(VALU_DEP_4)
	v_add_f32_e32 v18, v18, v34
	v_mul_f32_e32 v26, 0xbf7d64f0, v49
	v_fma_f32 v34, 0xbf27a4f4, v23, -v63
	v_dual_add_f32 v58, v58, v15 :: v_dual_add_f32 v15, v95, v14
	v_add_f32_e32 v95, v99, v96
	v_fmamk_f32 v96, v43, 0x3f7d64f0, v39
	v_fmamk_f32 v20, v51, 0xbe11bafb, v26
	v_fmac_f32_e32 v39, 0xbf7d64f0, v43
	s_delay_alu instid0(VALU_DEP_3) | instskip(SKIP_2) | instid1(VALU_DEP_2)
	v_add_f32_e32 v19, v96, v95
	v_fmamk_f32 v95, v23, 0x3f575c64, v46
	v_mul_f32_e32 v62, 0x3f7d64f0, v53
	v_dual_mul_f32 v96, 0xbf68dda4, v21 :: v_dual_add_f32 v21, v0, v95
	s_delay_alu instid0(VALU_DEP_2) | instskip(NEXT) | instid1(VALU_DEP_2)
	v_fmamk_f32 v97, v54, 0xbe11bafb, v62
	v_fmamk_f32 v36, v48, 0x3ed4b147, v96
	v_mul_f32_e32 v98, 0x3f0a6770, v56
	v_fmac_f32_e32 v30, 0x3f7d64f0, v41
	s_delay_alu instid0(VALU_DEP_3) | instskip(NEXT) | instid1(VALU_DEP_3)
	v_dual_add_f32 v14, v97, v58 :: v_dual_add_f32 v21, v36, v21
	v_fmamk_f32 v58, v57, 0x3f575c64, v98
	v_fmamk_f32 v36, v47, 0x3e903f40, v38
	s_delay_alu instid0(VALU_DEP_3) | instskip(NEXT) | instid1(VALU_DEP_3)
	v_add_f32_e32 v20, v20, v21
	v_add_f32_e32 v14, v58, v14
	v_fmamk_f32 v21, v54, 0xbf27a4f4, v32
	v_fmamk_f32 v58, v41, 0x3f4178ce, v42
	v_fmac_f32_e32 v42, 0xbf4178ce, v41
	s_delay_alu instid0(VALU_DEP_3) | instskip(SKIP_1) | instid1(VALU_DEP_1)
	v_add_f32_e32 v20, v21, v20
	v_fmamk_f32 v21, v57, 0xbf75a155, v22
	v_dual_add_f32 v19, v58, v19 :: v_dual_add_f32 v16, v21, v20
	v_add_f32_e32 v20, v37, v35
	s_delay_alu instid0(VALU_DEP_2) | instskip(SKIP_2) | instid1(VALU_DEP_4)
	v_add_f32_e32 v17, v36, v19
	v_add_f32_e32 v19, v28, v18
	v_fma_f32 v28, 0xbe11bafb, v48, -v64
	v_add_f32_e32 v18, v33, v20
	v_add_f32_e32 v33, v1, v65
	;; [unrolled: 1-line block ×4, first 2 shown]
	v_fma_f32 v2, 0x3ed4b147, v48, -v96
	s_delay_alu instid0(VALU_DEP_4) | instskip(SKIP_1) | instid1(VALU_DEP_2)
	v_dual_add_f32 v18, v27, v18 :: v_dual_add_f32 v25, v25, v33
	v_fma_f32 v27, 0x3f575c64, v51, -v69
	v_dual_add_f32 v1, v31, v1 :: v_dual_add_f32 v18, v24, v18
	s_delay_alu instid0(VALU_DEP_3) | instskip(SKIP_1) | instid1(VALU_DEP_2)
	v_add_f32_e32 v24, v52, v25
	v_fma_f32 v25, 0x3ed4b147, v57, -v68
	v_add_f32_e32 v24, v30, v24
	v_dual_add_f32 v20, v59, v21 :: v_dual_add_f32 v21, v0, v34
	s_delay_alu instid0(VALU_DEP_1) | instskip(SKIP_1) | instid1(VALU_DEP_2)
	v_dual_add_f32 v20, v66, v20 :: v_dual_add_f32 v21, v28, v21
	v_fma_f32 v28, 0xbf75a155, v54, -v70
	v_dual_fmac_f32 v38, 0xbe903f40, v47 :: v_dual_add_f32 v27, v27, v21
	s_delay_alu instid0(VALU_DEP_3) | instskip(SKIP_1) | instid1(VALU_DEP_3)
	v_add_f32_e32 v21, v67, v20
	v_fma_f32 v22, 0xbf75a155, v57, -v22
	v_add_f32_e32 v20, v28, v27
	v_fma_f32 v27, 0x3ed4b147, v23, -v55
	s_delay_alu instid0(VALU_DEP_2) | instskip(NEXT) | instid1(VALU_DEP_2)
	v_dual_add_f32 v20, v25, v20 :: v_dual_add_nc_u32 v25, 0x1400, v93
	v_add_f32_e32 v23, v0, v27
	v_add_f32_e32 v0, v0, v3
	v_fma_f32 v27, 0xbf27a4f4, v48, -v71
	s_delay_alu instid0(VALU_DEP_2) | instskip(SKIP_1) | instid1(VALU_DEP_3)
	v_add_f32_e32 v0, v2, v0
	v_fma_f32 v2, 0xbe11bafb, v51, -v26
	v_add_f32_e32 v3, v27, v23
	v_fma_f32 v23, 0xbf75a155, v51, -v91
	s_delay_alu instid0(VALU_DEP_3) | instskip(SKIP_1) | instid1(VALU_DEP_3)
	v_dual_add_f32 v1, v39, v1 :: v_dual_add_f32 v0, v2, v0
	v_fma_f32 v2, 0xbf27a4f4, v54, -v32
	v_add_f32_e32 v3, v23, v3
	v_fma_f32 v23, 0xbe11bafb, v54, -v62
	s_delay_alu instid0(VALU_DEP_4) | instskip(NEXT) | instid1(VALU_DEP_4)
	v_dual_add_f32 v26, v42, v1 :: v_dual_add_f32 v1, v92, v24
	v_add_f32_e32 v2, v2, v0
	s_delay_alu instid0(VALU_DEP_3) | instskip(SKIP_1) | instid1(VALU_DEP_3)
	v_dual_add_f32 v3, v23, v3 :: v_dual_add_nc_u32 v24, 0x1000, v93
	v_fma_f32 v23, 0x3f575c64, v57, -v98
	v_add_f32_e32 v2, v22, v2
	v_add_nc_u32_e32 v22, 0x400, v93
	s_delay_alu instid0(VALU_DEP_3)
	v_dual_add_f32 v0, v23, v3 :: v_dual_add_nc_u32 v23, 0x800, v93
	v_add_f32_e32 v3, v38, v26
	ds_store_2addr_b64 v93, v[18:19], v[16:17] offset1:90
	ds_store_2addr_b64 v22, v[14:15], v[12:13] offset0:52 offset1:142
	ds_store_2addr_b64 v23, v[10:11], v[8:9] offset0:104 offset1:194
	;; [unrolled: 1-line block ×4, first 2 shown]
	ds_store_b64 v93, v[2:3] offset:7200
.LBB0_29:
	s_wait_alu 0xfffe
	s_or_b32 exec_lo, exec_lo, s0
	global_wb scope:SCOPE_SE
	s_wait_dscnt 0x0
	s_barrier_signal -1
	s_barrier_wait -1
	global_inv scope:SCOPE_SE
	ds_load_2addr_b64 v[0:3], v93 offset1:110
	v_add_nc_u32_e32 v4, 0xc00, v93
	v_add_nc_u32_e32 v8, 0x400, v93
	v_mad_co_u64_u32 v[32:33], null, s6, v72, 0
	v_mad_co_u64_u32 v[34:35], null, s4, v94, 0
	s_mov_b32 s2, 0xb37565e2
	s_mov_b32 s3, 0x3f508cab
	s_mul_u64 s[0:1], s[4:5], 0x1ef
	s_movk_i32 s10, 0xfe7f
	s_mov_b32 s11, -1
	s_delay_alu instid0(VALU_DEP_1)
	v_mad_co_u64_u32 v[36:37], null, s7, v72, v[33:34]
	s_wait_alu 0xfffe
	s_lshl_b64 s[6:7], s[0:1], 3
	s_wait_dscnt 0x0
	v_mul_f32_e32 v19, v80, v2
	v_mul_f32_e32 v17, v78, v0
	ds_load_2addr_b64 v[4:7], v4 offset0:111 offset1:221
	v_add_nc_u32_e32 v12, 0x1400, v93
	v_mul_f32_e32 v16, v78, v1
	v_mad_co_u64_u32 v[37:38], null, s5, v94, v[35:36]
	v_fma_f32 v17, v77, v1, -v17
	v_fma_f32 v19, v79, v3, -v19
	s_mul_u64 s[4:5], s[4:5], s[10:11]
	v_mov_b32_e32 v33, v36
	s_wait_alu 0xfffe
	s_lshl_b64 s[4:5], s[4:5], 3
	s_delay_alu instid0(VALU_DEP_4) | instskip(NEXT) | instid1(VALU_DEP_2)
	v_mov_b32_e32 v35, v37
	v_lshlrev_b64_e32 v[32:33], 3, v[32:33]
	s_delay_alu instid0(VALU_DEP_2) | instskip(NEXT) | instid1(VALU_DEP_2)
	v_lshlrev_b64_e32 v[34:35], 3, v[34:35]
	v_add_co_u32 v32, s0, s8, v32
	s_wait_dscnt 0x0
	v_mul_f32_e32 v23, v88, v6
	v_mul_f32_e32 v21, v90, v4
	ds_load_2addr_b64 v[8:11], v8 offset0:92 offset1:202
	ds_load_2addr_b64 v[12:15], v12 offset0:75 offset1:185
	v_mul_f32_e32 v18, v80, v3
	v_mul_f32_e32 v20, v90, v5
	v_fmac_f32_e32 v16, v77, v0
	v_mul_f32_e32 v22, v88, v7
	v_fma_f32 v21, v89, v5, -v21
	v_fma_f32 v23, v87, v7, -v23
	v_fmac_f32_e32 v20, v89, v4
	s_wait_alu 0xf1ff
	v_add_co_ci_u32_e64 v33, s0, s9, v33, s0
	v_add_co_u32 v32, s0, v32, v34
	s_wait_alu 0xf1ff
	s_delay_alu instid0(VALU_DEP_2)
	v_add_co_ci_u32_e64 v33, s0, v33, v35, s0
	s_wait_dscnt 0x1
	v_mul_f32_e32 v25, v82, v8
	s_wait_dscnt 0x0
	v_dual_mul_f32 v31, v86, v14 :: v_dual_mul_f32 v26, v76, v13
	v_fmac_f32_e32 v18, v79, v2
	v_dual_mul_f32 v24, v82, v9 :: v_dual_mul_f32 v29, v84, v10
	v_cvt_f64_f32_e32 v[0:1], v16
	s_delay_alu instid0(VALU_DEP_4)
	v_fmac_f32_e32 v26, v75, v12
	v_mul_f32_e32 v12, v76, v12
	v_cvt_f64_f32_e32 v[2:3], v17
	v_mul_f32_e32 v28, v84, v11
	v_cvt_f64_f32_e32 v[4:5], v18
	v_cvt_f64_f32_e32 v[16:17], v19
	v_fmac_f32_e32 v22, v87, v6
	v_cvt_f64_f32_e32 v[6:7], v20
	v_cvt_f64_f32_e32 v[18:19], v21
	v_mul_f32_e32 v30, v86, v15
	v_fmac_f32_e32 v24, v81, v8
	v_fma_f32 v25, v81, v9, -v25
	v_fma_f32 v12, v75, v13, -v12
	;; [unrolled: 1-line block ×3, first 2 shown]
	v_fmac_f32_e32 v28, v83, v10
	v_fmac_f32_e32 v30, v85, v14
	v_fma_f32 v31, v85, v15, -v31
	v_cvt_f64_f32_e32 v[8:9], v22
	v_cvt_f64_f32_e32 v[20:21], v23
	;; [unrolled: 1-line block ×10, first 2 shown]
	v_mul_f64_e32 v[0:1], s[2:3], v[0:1]
	v_mul_f64_e32 v[2:3], s[2:3], v[2:3]
	v_mul_f64_e32 v[4:5], s[2:3], v[4:5]
	v_mul_f64_e32 v[16:17], s[2:3], v[16:17]
	v_mul_f64_e32 v[6:7], s[2:3], v[6:7]
	v_mul_f64_e32 v[18:19], s[2:3], v[18:19]
	v_mul_f64_e32 v[8:9], s[2:3], v[8:9]
	v_mul_f64_e32 v[20:21], s[2:3], v[20:21]
	v_mul_f64_e32 v[22:23], s[2:3], v[22:23]
	v_mul_f64_e32 v[24:25], s[2:3], v[24:25]
	v_mul_f64_e32 v[10:11], s[2:3], v[10:11]
	v_mul_f64_e32 v[14:15], s[2:3], v[14:15]
	v_mul_f64_e32 v[26:27], s[2:3], v[26:27]
	v_mul_f64_e32 v[12:13], s[2:3], v[12:13]
	v_mul_f64_e32 v[28:29], s[2:3], v[28:29]
	v_mul_f64_e32 v[30:31], s[2:3], v[30:31]
	v_cvt_f32_f64_e32 v0, v[0:1]
	v_cvt_f32_f64_e32 v1, v[2:3]
	;; [unrolled: 1-line block ×12, first 2 shown]
	v_add_co_u32 v14, s0, v32, s6
	v_cvt_f32_f64_e32 v16, v[26:27]
	v_cvt_f32_f64_e32 v10, v[12:13]
	s_wait_alu 0xf1ff
	v_add_co_ci_u32_e64 v15, s0, s7, v33, s0
	v_cvt_f32_f64_e32 v12, v[28:29]
	v_cvt_f32_f64_e32 v13, v[30:31]
	s_wait_alu 0xfffe
	v_add_co_u32 v18, s0, v14, s4
	s_wait_alu 0xf1ff
	v_add_co_ci_u32_e64 v19, s0, s5, v15, s0
	s_clause 0x2
	global_store_b64 v[32:33], v[0:1], off
	global_store_b64 v[14:15], v[4:5], off
	;; [unrolled: 1-line block ×3, first 2 shown]
	v_add_co_u32 v20, s0, v18, s6
	s_wait_alu 0xf1ff
	v_add_co_ci_u32_e64 v21, s0, s7, v19, s0
	s_delay_alu instid0(VALU_DEP_2) | instskip(SKIP_1) | instid1(VALU_DEP_2)
	v_add_co_u32 v22, s0, v20, s4
	s_wait_alu 0xf1ff
	v_add_co_ci_u32_e64 v23, s0, s5, v21, s0
	s_delay_alu instid0(VALU_DEP_2) | instskip(SKIP_1) | instid1(VALU_DEP_2)
	v_add_co_u32 v24, s0, v22, s6
	s_wait_alu 0xf1ff
	v_add_co_ci_u32_e64 v25, s0, s7, v23, s0
	s_delay_alu instid0(VALU_DEP_2) | instskip(SKIP_1) | instid1(VALU_DEP_2)
	v_add_co_u32 v26, s0, v24, s4
	s_wait_alu 0xf1ff
	v_add_co_ci_u32_e64 v27, s0, s5, v25, s0
	s_delay_alu instid0(VALU_DEP_2) | instskip(SKIP_1) | instid1(VALU_DEP_2)
	v_add_co_u32 v0, s0, v26, s6
	s_wait_alu 0xf1ff
	v_add_co_ci_u32_e64 v1, s0, s7, v27, s0
	s_clause 0x1
	global_store_b64 v[20:21], v[6:7], off
	global_store_b64 v[22:23], v[8:9], off
	global_store_b64 v[24:25], v[16:17], off
	global_store_b64 v[26:27], v[10:11], off
	global_store_b64 v[0:1], v[12:13], off
	s_and_b32 exec_lo, exec_lo, vcc_lo
	s_cbranch_execz .LBB0_31
; %bb.30:
	s_clause 0x1
	global_load_b64 v[2:3], v[73:74], off offset:3520
	global_load_b64 v[4:5], v[73:74], off offset:7480
	ds_load_b64 v[6:7], v93 offset:3520
	ds_load_b64 v[8:9], v93 offset:7480
	v_add_co_u32 v0, vcc_lo, v0, s4
	s_wait_alu 0xfffd
	v_add_co_ci_u32_e32 v1, vcc_lo, s5, v1, vcc_lo
	s_wait_loadcnt_dscnt 0x0
	v_dual_mul_f32 v10, v7, v3 :: v_dual_mul_f32 v11, v9, v5
	v_mul_f32_e32 v3, v6, v3
	s_delay_alu instid0(VALU_DEP_2) | instskip(NEXT) | instid1(VALU_DEP_3)
	v_dual_mul_f32 v5, v8, v5 :: v_dual_fmac_f32 v10, v6, v2
	v_fmac_f32_e32 v11, v8, v4
	s_delay_alu instid0(VALU_DEP_3) | instskip(NEXT) | instid1(VALU_DEP_3)
	v_fma_f32 v6, v2, v7, -v3
	v_fma_f32 v8, v4, v9, -v5
	s_delay_alu instid0(VALU_DEP_4) | instskip(NEXT) | instid1(VALU_DEP_3)
	v_cvt_f64_f32_e32 v[2:3], v10
	v_cvt_f64_f32_e32 v[4:5], v6
	;; [unrolled: 1-line block ×3, first 2 shown]
	s_delay_alu instid0(VALU_DEP_4) | instskip(NEXT) | instid1(VALU_DEP_4)
	v_cvt_f64_f32_e32 v[8:9], v8
	v_mul_f64_e32 v[2:3], s[2:3], v[2:3]
	s_delay_alu instid0(VALU_DEP_4) | instskip(NEXT) | instid1(VALU_DEP_4)
	v_mul_f64_e32 v[4:5], s[2:3], v[4:5]
	v_mul_f64_e32 v[6:7], s[2:3], v[6:7]
	s_delay_alu instid0(VALU_DEP_4) | instskip(NEXT) | instid1(VALU_DEP_4)
	v_mul_f64_e32 v[8:9], s[2:3], v[8:9]
	v_cvt_f32_f64_e32 v2, v[2:3]
	s_delay_alu instid0(VALU_DEP_4) | instskip(NEXT) | instid1(VALU_DEP_4)
	v_cvt_f32_f64_e32 v3, v[4:5]
	v_cvt_f32_f64_e32 v4, v[6:7]
	s_delay_alu instid0(VALU_DEP_4)
	v_cvt_f32_f64_e32 v5, v[8:9]
	v_add_co_u32 v6, vcc_lo, v0, s6
	s_wait_alu 0xfffd
	v_add_co_ci_u32_e32 v7, vcc_lo, s7, v1, vcc_lo
	global_store_b64 v[0:1], v[2:3], off
	global_store_b64 v[6:7], v[4:5], off
.LBB0_31:
	s_nop 0
	s_sendmsg sendmsg(MSG_DEALLOC_VGPRS)
	s_endpgm
	.section	.rodata,"a",@progbits
	.p2align	6, 0x0
	.amdhsa_kernel bluestein_single_fwd_len990_dim1_sp_op_CI_CI
		.amdhsa_group_segment_fixed_size 7920
		.amdhsa_private_segment_fixed_size 0
		.amdhsa_kernarg_size 104
		.amdhsa_user_sgpr_count 2
		.amdhsa_user_sgpr_dispatch_ptr 0
		.amdhsa_user_sgpr_queue_ptr 0
		.amdhsa_user_sgpr_kernarg_segment_ptr 1
		.amdhsa_user_sgpr_dispatch_id 0
		.amdhsa_user_sgpr_private_segment_size 0
		.amdhsa_wavefront_size32 1
		.amdhsa_uses_dynamic_stack 0
		.amdhsa_enable_private_segment 0
		.amdhsa_system_sgpr_workgroup_id_x 1
		.amdhsa_system_sgpr_workgroup_id_y 0
		.amdhsa_system_sgpr_workgroup_id_z 0
		.amdhsa_system_sgpr_workgroup_info 0
		.amdhsa_system_vgpr_workitem_id 0
		.amdhsa_next_free_vgpr 208
		.amdhsa_next_free_sgpr 18
		.amdhsa_reserve_vcc 1
		.amdhsa_float_round_mode_32 0
		.amdhsa_float_round_mode_16_64 0
		.amdhsa_float_denorm_mode_32 3
		.amdhsa_float_denorm_mode_16_64 3
		.amdhsa_fp16_overflow 0
		.amdhsa_workgroup_processor_mode 1
		.amdhsa_memory_ordered 1
		.amdhsa_forward_progress 0
		.amdhsa_round_robin_scheduling 0
		.amdhsa_exception_fp_ieee_invalid_op 0
		.amdhsa_exception_fp_denorm_src 0
		.amdhsa_exception_fp_ieee_div_zero 0
		.amdhsa_exception_fp_ieee_overflow 0
		.amdhsa_exception_fp_ieee_underflow 0
		.amdhsa_exception_fp_ieee_inexact 0
		.amdhsa_exception_int_div_zero 0
	.end_amdhsa_kernel
	.text
.Lfunc_end0:
	.size	bluestein_single_fwd_len990_dim1_sp_op_CI_CI, .Lfunc_end0-bluestein_single_fwd_len990_dim1_sp_op_CI_CI
                                        ; -- End function
	.section	.AMDGPU.csdata,"",@progbits
; Kernel info:
; codeLenInByte = 13712
; NumSgprs: 20
; NumVgprs: 208
; ScratchSize: 0
; MemoryBound: 0
; FloatMode: 240
; IeeeMode: 1
; LDSByteSize: 7920 bytes/workgroup (compile time only)
; SGPRBlocks: 2
; VGPRBlocks: 25
; NumSGPRsForWavesPerEU: 20
; NumVGPRsForWavesPerEU: 208
; Occupancy: 7
; WaveLimiterHint : 1
; COMPUTE_PGM_RSRC2:SCRATCH_EN: 0
; COMPUTE_PGM_RSRC2:USER_SGPR: 2
; COMPUTE_PGM_RSRC2:TRAP_HANDLER: 0
; COMPUTE_PGM_RSRC2:TGID_X_EN: 1
; COMPUTE_PGM_RSRC2:TGID_Y_EN: 0
; COMPUTE_PGM_RSRC2:TGID_Z_EN: 0
; COMPUTE_PGM_RSRC2:TIDIG_COMP_CNT: 0
	.text
	.p2alignl 7, 3214868480
	.fill 96, 4, 3214868480
	.type	__hip_cuid_acbd7c39c67919ae,@object ; @__hip_cuid_acbd7c39c67919ae
	.section	.bss,"aw",@nobits
	.globl	__hip_cuid_acbd7c39c67919ae
__hip_cuid_acbd7c39c67919ae:
	.byte	0                               ; 0x0
	.size	__hip_cuid_acbd7c39c67919ae, 1

	.ident	"AMD clang version 19.0.0git (https://github.com/RadeonOpenCompute/llvm-project roc-6.4.0 25133 c7fe45cf4b819c5991fe208aaa96edf142730f1d)"
	.section	".note.GNU-stack","",@progbits
	.addrsig
	.addrsig_sym __hip_cuid_acbd7c39c67919ae
	.amdgpu_metadata
---
amdhsa.kernels:
  - .args:
      - .actual_access:  read_only
        .address_space:  global
        .offset:         0
        .size:           8
        .value_kind:     global_buffer
      - .actual_access:  read_only
        .address_space:  global
        .offset:         8
        .size:           8
        .value_kind:     global_buffer
      - .actual_access:  read_only
        .address_space:  global
        .offset:         16
        .size:           8
        .value_kind:     global_buffer
      - .actual_access:  read_only
        .address_space:  global
        .offset:         24
        .size:           8
        .value_kind:     global_buffer
      - .actual_access:  read_only
        .address_space:  global
        .offset:         32
        .size:           8
        .value_kind:     global_buffer
      - .offset:         40
        .size:           8
        .value_kind:     by_value
      - .address_space:  global
        .offset:         48
        .size:           8
        .value_kind:     global_buffer
      - .address_space:  global
        .offset:         56
        .size:           8
        .value_kind:     global_buffer
      - .address_space:  global
        .offset:         64
        .size:           8
        .value_kind:     global_buffer
      - .address_space:  global
        .offset:         72
        .size:           8
        .value_kind:     global_buffer
      - .offset:         80
        .size:           4
        .value_kind:     by_value
      - .address_space:  global
        .offset:         88
        .size:           8
        .value_kind:     global_buffer
      - .address_space:  global
        .offset:         96
        .size:           8
        .value_kind:     global_buffer
    .group_segment_fixed_size: 7920
    .kernarg_segment_align: 8
    .kernarg_segment_size: 104
    .language:       OpenCL C
    .language_version:
      - 2
      - 0
    .max_flat_workgroup_size: 110
    .name:           bluestein_single_fwd_len990_dim1_sp_op_CI_CI
    .private_segment_fixed_size: 0
    .sgpr_count:     20
    .sgpr_spill_count: 0
    .symbol:         bluestein_single_fwd_len990_dim1_sp_op_CI_CI.kd
    .uniform_work_group_size: 1
    .uses_dynamic_stack: false
    .vgpr_count:     208
    .vgpr_spill_count: 0
    .wavefront_size: 32
    .workgroup_processor_mode: 1
amdhsa.target:   amdgcn-amd-amdhsa--gfx1201
amdhsa.version:
  - 1
  - 2
...

	.end_amdgpu_metadata
